;; amdgpu-corpus repo=ROCm/rocFFT kind=compiled arch=gfx1030 opt=O3
	.text
	.amdgcn_target "amdgcn-amd-amdhsa--gfx1030"
	.amdhsa_code_object_version 6
	.protected	fft_rtc_fwd_len1365_factors_13_7_5_3_wgs_182_tpt_91_halfLds_half_op_CI_CI_unitstride_sbrr_dirReg ; -- Begin function fft_rtc_fwd_len1365_factors_13_7_5_3_wgs_182_tpt_91_halfLds_half_op_CI_CI_unitstride_sbrr_dirReg
	.globl	fft_rtc_fwd_len1365_factors_13_7_5_3_wgs_182_tpt_91_halfLds_half_op_CI_CI_unitstride_sbrr_dirReg
	.p2align	8
	.type	fft_rtc_fwd_len1365_factors_13_7_5_3_wgs_182_tpt_91_halfLds_half_op_CI_CI_unitstride_sbrr_dirReg,@function
fft_rtc_fwd_len1365_factors_13_7_5_3_wgs_182_tpt_91_halfLds_half_op_CI_CI_unitstride_sbrr_dirReg: ; @fft_rtc_fwd_len1365_factors_13_7_5_3_wgs_182_tpt_91_halfLds_half_op_CI_CI_unitstride_sbrr_dirReg
; %bb.0:
	s_clause 0x2
	s_load_dwordx4 s[12:15], s[4:5], 0x0
	s_load_dwordx4 s[8:11], s[4:5], 0x58
	;; [unrolled: 1-line block ×3, first 2 shown]
	v_mul_u32_u24_e32 v1, 0x2d1, v0
	v_mov_b32_e32 v8, 0
	v_lshrrev_b32_e32 v12, 16, v1
	v_mov_b32_e32 v1, 0
	v_mov_b32_e32 v11, v8
	v_mov_b32_e32 v2, 0
	v_lshl_add_u32 v10, s6, 1, v12
	s_waitcnt lgkmcnt(0)
	v_cmp_lt_u64_e64 s0, s[14:15], 2
	s_and_b32 vcc_lo, exec_lo, s0
	s_cbranch_vccnz .LBB0_8
; %bb.1:
	s_load_dwordx2 s[0:1], s[4:5], 0x10
	v_mov_b32_e32 v1, 0
	v_mov_b32_e32 v2, 0
	s_add_u32 s2, s18, 8
	s_addc_u32 s3, s19, 0
	s_add_u32 s6, s16, 8
	s_addc_u32 s7, s17, 0
	v_mov_b32_e32 v5, v2
	v_mov_b32_e32 v4, v1
	s_mov_b64 s[22:23], 1
	s_waitcnt lgkmcnt(0)
	s_add_u32 s20, s0, 8
	s_addc_u32 s21, s1, 0
.LBB0_2:                                ; =>This Inner Loop Header: Depth=1
	s_load_dwordx2 s[24:25], s[20:21], 0x0
                                        ; implicit-def: $vgpr6_vgpr7
	s_mov_b32 s0, exec_lo
	s_waitcnt lgkmcnt(0)
	v_or_b32_e32 v9, s25, v11
	v_cmpx_ne_u64_e32 0, v[8:9]
	s_xor_b32 s1, exec_lo, s0
	s_cbranch_execz .LBB0_4
; %bb.3:                                ;   in Loop: Header=BB0_2 Depth=1
	v_cvt_f32_u32_e32 v3, s24
	v_cvt_f32_u32_e32 v6, s25
	s_sub_u32 s0, 0, s24
	s_subb_u32 s26, 0, s25
	v_fmac_f32_e32 v3, 0x4f800000, v6
	v_rcp_f32_e32 v3, v3
	v_mul_f32_e32 v3, 0x5f7ffffc, v3
	v_mul_f32_e32 v6, 0x2f800000, v3
	v_trunc_f32_e32 v6, v6
	v_fmac_f32_e32 v3, 0xcf800000, v6
	v_cvt_u32_f32_e32 v6, v6
	v_cvt_u32_f32_e32 v3, v3
	v_mul_lo_u32 v7, s0, v6
	v_mul_hi_u32 v9, s0, v3
	v_mul_lo_u32 v13, s26, v3
	v_add_nc_u32_e32 v7, v9, v7
	v_mul_lo_u32 v9, s0, v3
	v_add_nc_u32_e32 v7, v7, v13
	v_mul_hi_u32 v13, v3, v9
	v_mul_lo_u32 v14, v3, v7
	v_mul_hi_u32 v15, v3, v7
	v_mul_hi_u32 v16, v6, v9
	v_mul_lo_u32 v9, v6, v9
	v_mul_hi_u32 v17, v6, v7
	v_mul_lo_u32 v7, v6, v7
	v_add_co_u32 v13, vcc_lo, v13, v14
	v_add_co_ci_u32_e32 v14, vcc_lo, 0, v15, vcc_lo
	v_add_co_u32 v9, vcc_lo, v13, v9
	v_add_co_ci_u32_e32 v9, vcc_lo, v14, v16, vcc_lo
	v_add_co_ci_u32_e32 v13, vcc_lo, 0, v17, vcc_lo
	v_add_co_u32 v7, vcc_lo, v9, v7
	v_add_co_ci_u32_e32 v9, vcc_lo, 0, v13, vcc_lo
	v_add_co_u32 v3, vcc_lo, v3, v7
	v_add_co_ci_u32_e32 v6, vcc_lo, v6, v9, vcc_lo
	v_mul_hi_u32 v7, s0, v3
	v_mul_lo_u32 v13, s26, v3
	v_mul_lo_u32 v9, s0, v6
	v_add_nc_u32_e32 v7, v7, v9
	v_mul_lo_u32 v9, s0, v3
	v_add_nc_u32_e32 v7, v7, v13
	v_mul_hi_u32 v13, v3, v9
	v_mul_lo_u32 v14, v3, v7
	v_mul_hi_u32 v15, v3, v7
	v_mul_hi_u32 v16, v6, v9
	v_mul_lo_u32 v9, v6, v9
	v_mul_hi_u32 v17, v6, v7
	v_mul_lo_u32 v7, v6, v7
	v_add_co_u32 v13, vcc_lo, v13, v14
	v_add_co_ci_u32_e32 v14, vcc_lo, 0, v15, vcc_lo
	v_add_co_u32 v9, vcc_lo, v13, v9
	v_add_co_ci_u32_e32 v9, vcc_lo, v14, v16, vcc_lo
	v_add_co_ci_u32_e32 v13, vcc_lo, 0, v17, vcc_lo
	v_add_co_u32 v7, vcc_lo, v9, v7
	v_add_co_ci_u32_e32 v9, vcc_lo, 0, v13, vcc_lo
	v_add_co_u32 v3, vcc_lo, v3, v7
	v_add_co_ci_u32_e32 v9, vcc_lo, v6, v9, vcc_lo
	v_mul_hi_u32 v17, v10, v3
	v_mad_u64_u32 v[13:14], null, v11, v3, 0
	v_mad_u64_u32 v[6:7], null, v10, v9, 0
	v_mad_u64_u32 v[15:16], null, v11, v9, 0
	v_add_co_u32 v3, vcc_lo, v17, v6
	v_add_co_ci_u32_e32 v6, vcc_lo, 0, v7, vcc_lo
	v_add_co_u32 v3, vcc_lo, v3, v13
	v_add_co_ci_u32_e32 v3, vcc_lo, v6, v14, vcc_lo
	v_add_co_ci_u32_e32 v6, vcc_lo, 0, v16, vcc_lo
	v_add_co_u32 v3, vcc_lo, v3, v15
	v_add_co_ci_u32_e32 v9, vcc_lo, 0, v6, vcc_lo
	v_mul_lo_u32 v13, s25, v3
	v_mad_u64_u32 v[6:7], null, s24, v3, 0
	v_mul_lo_u32 v14, s24, v9
	v_sub_co_u32 v6, vcc_lo, v10, v6
	v_add3_u32 v7, v7, v14, v13
	v_sub_nc_u32_e32 v13, v11, v7
	v_subrev_co_ci_u32_e64 v13, s0, s25, v13, vcc_lo
	v_add_co_u32 v14, s0, v3, 2
	v_add_co_ci_u32_e64 v15, s0, 0, v9, s0
	v_sub_co_u32 v16, s0, v6, s24
	v_sub_co_ci_u32_e32 v7, vcc_lo, v11, v7, vcc_lo
	v_subrev_co_ci_u32_e64 v13, s0, 0, v13, s0
	v_cmp_le_u32_e32 vcc_lo, s24, v16
	v_cmp_eq_u32_e64 s0, s25, v7
	v_cndmask_b32_e64 v16, 0, -1, vcc_lo
	v_cmp_le_u32_e32 vcc_lo, s25, v13
	v_cndmask_b32_e64 v17, 0, -1, vcc_lo
	v_cmp_le_u32_e32 vcc_lo, s24, v6
	;; [unrolled: 2-line block ×3, first 2 shown]
	v_cndmask_b32_e64 v18, 0, -1, vcc_lo
	v_cmp_eq_u32_e32 vcc_lo, s25, v13
	v_cndmask_b32_e64 v6, v18, v6, s0
	v_cndmask_b32_e32 v13, v17, v16, vcc_lo
	v_add_co_u32 v16, vcc_lo, v3, 1
	v_add_co_ci_u32_e32 v17, vcc_lo, 0, v9, vcc_lo
	v_cmp_ne_u32_e32 vcc_lo, 0, v13
	v_cndmask_b32_e32 v7, v17, v15, vcc_lo
	v_cndmask_b32_e32 v13, v16, v14, vcc_lo
	v_cmp_ne_u32_e32 vcc_lo, 0, v6
	v_cndmask_b32_e32 v7, v9, v7, vcc_lo
	v_cndmask_b32_e32 v6, v3, v13, vcc_lo
.LBB0_4:                                ;   in Loop: Header=BB0_2 Depth=1
	s_andn2_saveexec_b32 s0, s1
	s_cbranch_execz .LBB0_6
; %bb.5:                                ;   in Loop: Header=BB0_2 Depth=1
	v_cvt_f32_u32_e32 v3, s24
	s_sub_i32 s1, 0, s24
	v_rcp_iflag_f32_e32 v3, v3
	v_mul_f32_e32 v3, 0x4f7ffffe, v3
	v_cvt_u32_f32_e32 v3, v3
	v_mul_lo_u32 v6, s1, v3
	v_mul_hi_u32 v6, v3, v6
	v_add_nc_u32_e32 v3, v3, v6
	v_mul_hi_u32 v3, v10, v3
	v_mul_lo_u32 v6, v3, s24
	v_add_nc_u32_e32 v7, 1, v3
	v_sub_nc_u32_e32 v6, v10, v6
	v_subrev_nc_u32_e32 v9, s24, v6
	v_cmp_le_u32_e32 vcc_lo, s24, v6
	v_cndmask_b32_e32 v6, v6, v9, vcc_lo
	v_cndmask_b32_e32 v3, v3, v7, vcc_lo
	v_cmp_le_u32_e32 vcc_lo, s24, v6
	v_add_nc_u32_e32 v7, 1, v3
	v_cndmask_b32_e32 v6, v3, v7, vcc_lo
	v_mov_b32_e32 v7, v8
.LBB0_6:                                ;   in Loop: Header=BB0_2 Depth=1
	s_or_b32 exec_lo, exec_lo, s0
	v_mul_lo_u32 v3, v7, s24
	v_mul_lo_u32 v9, v6, s25
	s_load_dwordx2 s[0:1], s[6:7], 0x0
	v_mad_u64_u32 v[13:14], null, v6, s24, 0
	s_load_dwordx2 s[24:25], s[2:3], 0x0
	s_add_u32 s22, s22, 1
	s_addc_u32 s23, s23, 0
	s_add_u32 s2, s2, 8
	s_addc_u32 s3, s3, 0
	s_add_u32 s6, s6, 8
	v_add3_u32 v3, v14, v9, v3
	v_sub_co_u32 v9, vcc_lo, v10, v13
	s_addc_u32 s7, s7, 0
	s_add_u32 s20, s20, 8
	v_sub_co_ci_u32_e32 v3, vcc_lo, v11, v3, vcc_lo
	s_addc_u32 s21, s21, 0
	s_waitcnt lgkmcnt(0)
	v_mul_lo_u32 v10, s0, v3
	v_mul_lo_u32 v11, s1, v9
	v_mad_u64_u32 v[1:2], null, s0, v9, v[1:2]
	v_mul_lo_u32 v3, s24, v3
	v_mul_lo_u32 v13, s25, v9
	v_mad_u64_u32 v[4:5], null, s24, v9, v[4:5]
	v_cmp_ge_u64_e64 s0, s[22:23], s[14:15]
	v_add3_u32 v2, v11, v2, v10
	v_add3_u32 v5, v13, v5, v3
	s_and_b32 vcc_lo, exec_lo, s0
	s_cbranch_vccnz .LBB0_9
; %bb.7:                                ;   in Loop: Header=BB0_2 Depth=1
	v_mov_b32_e32 v11, v7
	v_mov_b32_e32 v10, v6
	s_branch .LBB0_2
.LBB0_8:
	v_mov_b32_e32 v5, v2
	v_mov_b32_e32 v6, v10
	;; [unrolled: 1-line block ×4, first 2 shown]
.LBB0_9:
	s_load_dwordx2 s[0:1], s[4:5], 0x28
	v_mul_hi_u32 v8, 0x2d02d03, v0
	s_lshl_b64 s[4:5], s[14:15], 3
                                        ; implicit-def: $sgpr6
                                        ; implicit-def: $vgpr10
	s_add_u32 s2, s18, s4
	s_addc_u32 s3, s19, s5
	s_waitcnt lgkmcnt(0)
	v_cmp_gt_u64_e32 vcc_lo, s[0:1], v[6:7]
	v_cmp_le_u64_e64 s0, s[0:1], v[6:7]
	s_and_saveexec_b32 s1, s0
	s_xor_b32 s0, exec_lo, s1
; %bb.10:
	v_mul_u32_u24_e32 v1, 0x5b, v8
	s_mov_b32 s6, 0
                                        ; implicit-def: $vgpr8
	v_sub_nc_u32_e32 v10, v0, v1
                                        ; implicit-def: $vgpr0
                                        ; implicit-def: $vgpr1_vgpr2
; %bb.11:
	s_or_saveexec_b32 s1, s0
	s_load_dwordx2 s[2:3], s[2:3], 0x0
	v_mov_b32_e32 v14, s6
	v_mov_b32_e32 v11, s6
                                        ; implicit-def: $vgpr3
                                        ; implicit-def: $vgpr27
                                        ; implicit-def: $vgpr66
                                        ; implicit-def: $vgpr39
                                        ; implicit-def: $vgpr67
                                        ; implicit-def: $vgpr40
                                        ; implicit-def: $vgpr65
                                        ; implicit-def: $vgpr41
                                        ; implicit-def: $vgpr64
                                        ; implicit-def: $vgpr42
                                        ; implicit-def: $vgpr62
                                        ; implicit-def: $vgpr43
                                        ; implicit-def: $vgpr60
                                        ; implicit-def: $vgpr44
                                        ; implicit-def: $vgpr59
                                        ; implicit-def: $vgpr45
                                        ; implicit-def: $vgpr58
                                        ; implicit-def: $vgpr49
                                        ; implicit-def: $vgpr57
                                        ; implicit-def: $vgpr50
                                        ; implicit-def: $vgpr56
                                        ; implicit-def: $vgpr51
                                        ; implicit-def: $vgpr26
                                        ; implicit-def: $vgpr34
                                        ; implicit-def: $vgpr25
                                        ; implicit-def: $vgpr32
                                        ; implicit-def: $vgpr24
                                        ; implicit-def: $vgpr29
                                        ; implicit-def: $vgpr23
                                        ; implicit-def: $vgpr31
                                        ; implicit-def: $vgpr22
                                        ; implicit-def: $vgpr30
                                        ; implicit-def: $vgpr21
                                        ; implicit-def: $vgpr13
                                        ; implicit-def: $vgpr15
                                        ; implicit-def: $vgpr38
                                        ; implicit-def: $vgpr16
                                        ; implicit-def: $vgpr37
                                        ; implicit-def: $vgpr17
                                        ; implicit-def: $vgpr36
                                        ; implicit-def: $vgpr18
                                        ; implicit-def: $vgpr35
                                        ; implicit-def: $vgpr19
                                        ; implicit-def: $vgpr33
                                        ; implicit-def: $vgpr20
                                        ; implicit-def: $vgpr28
                                        ; implicit-def: $vgpr61
                                        ; implicit-def: $vgpr53
                                        ; implicit-def: $vgpr63
                                        ; implicit-def: $vgpr52
	s_xor_b32 exec_lo, exec_lo, s1
	s_cbranch_execz .LBB0_15
; %bb.12:
	s_add_u32 s4, s16, s4
	s_addc_u32 s5, s17, s5
	v_lshlrev_b64 v[1:2], 2, v[1:2]
	s_load_dwordx2 s[4:5], s[4:5], 0x0
	v_mov_b32_e32 v14, 0
                                        ; implicit-def: $vgpr28
                                        ; implicit-def: $vgpr20
                                        ; implicit-def: $vgpr33
                                        ; implicit-def: $vgpr19
                                        ; implicit-def: $vgpr35
                                        ; implicit-def: $vgpr18
                                        ; implicit-def: $vgpr36
                                        ; implicit-def: $vgpr17
                                        ; implicit-def: $vgpr37
                                        ; implicit-def: $vgpr16
                                        ; implicit-def: $vgpr38
                                        ; implicit-def: $vgpr15
                                        ; implicit-def: $vgpr13
                                        ; implicit-def: $vgpr21
                                        ; implicit-def: $vgpr30
                                        ; implicit-def: $vgpr22
                                        ; implicit-def: $vgpr31
                                        ; implicit-def: $vgpr23
                                        ; implicit-def: $vgpr29
                                        ; implicit-def: $vgpr24
                                        ; implicit-def: $vgpr32
                                        ; implicit-def: $vgpr25
                                        ; implicit-def: $vgpr34
                                        ; implicit-def: $vgpr26
	s_waitcnt lgkmcnt(0)
	v_mul_lo_u32 v3, s5, v6
	v_mul_lo_u32 v11, s4, v7
	v_mad_u64_u32 v[9:10], null, s4, v6, 0
	v_add3_u32 v10, v10, v11, v3
	v_mul_u32_u24_e32 v3, 0x5b, v8
	v_mov_b32_e32 v11, 0
	v_lshlrev_b64 v[8:9], 2, v[9:10]
	v_sub_nc_u32_e32 v10, v0, v3
	v_add_co_u32 v0, s0, s8, v8
	v_add_co_ci_u32_e64 v3, s0, s9, v9, s0
	v_lshlrev_b32_e32 v8, 2, v10
	v_add_co_u32 v0, s0, v0, v1
	v_add_co_ci_u32_e64 v1, s0, v3, v2, s0
	v_add_co_u32 v8, s0, v0, v8
	v_add_co_ci_u32_e64 v9, s0, 0, v1, s0
	;; [unrolled: 2-line block ×4, first 2 shown]
	s_clause 0xc
	global_load_dword v27, v[8:9], off
	global_load_dword v39, v[8:9], off offset:420
	global_load_dword v40, v[8:9], off offset:840
	;; [unrolled: 1-line block ×12, first 2 shown]
	v_cmp_gt_u32_e64 s0, 14, v10
	s_and_saveexec_b32 s4, s0
	s_cbranch_execz .LBB0_14
; %bb.13:
	s_clause 0xc
	global_load_dword v11, v[8:9], off offset:364
	global_load_dword v34, v[8:9], off offset:784
	;; [unrolled: 1-line block ×13, first 2 shown]
	s_waitcnt vmcnt(12)
	v_lshrrev_b32_e32 v14, 16, v11
	s_waitcnt vmcnt(11)
	v_lshrrev_b32_e32 v26, 16, v34
	;; [unrolled: 2-line block ×13, first 2 shown]
.LBB0_14:
	s_or_b32 exec_lo, exec_lo, s4
	s_waitcnt vmcnt(12)
	v_lshrrev_b32_e32 v3, 16, v27
	s_waitcnt vmcnt(11)
	v_lshrrev_b32_e32 v66, 16, v39
	;; [unrolled: 2-line block ×13, first 2 shown]
.LBB0_15:
	s_or_b32 exec_lo, exec_lo, s1
	v_add_f16_e32 v0, v53, v39
	v_sub_f16_e32 v1, v66, v61
	v_add_f16_e32 v2, v40, v51
	v_sub_f16_e32 v8, v67, v56
	v_add_f16_e32 v9, v52, v41
	v_pk_mul_f16 v46, 0x388b3b15, v0 op_sel_hi:[1,0]
	v_sub_f16_e32 v47, v65, v63
	v_pk_mul_f16 v54, 0xb5ac388b, v2 op_sel_hi:[1,0]
	v_add_f16_e32 v48, v42, v50
	v_pk_mul_f16 v70, 0xbbc42fb7, v9 op_sel_hi:[1,0]
	v_pk_fma_f16 v68, 0xba95b770, v1, v46 op_sel_hi:[1,0,1] neg_lo:[0,1,0] neg_hi:[0,1,0]
	v_pk_mul_f16 v55, 0xb5ac2fb7, v0 op_sel_hi:[1,0]
	v_pk_fma_f16 v71, 0xbb7bba95, v8, v54 op_sel_hi:[1,0,1] neg_lo:[0,1,0] neg_hi:[0,1,0]
	v_sub_f16_e32 v73, v64, v57
	v_pk_fma_f16 v75, 0xb3a8bbf1, v47, v70 op_sel_hi:[1,0,1] neg_lo:[0,1,0] neg_hi:[0,1,0]
	v_pk_add_f16 v68, v68, v27 op_sel_hi:[1,0]
	v_add_f16_e32 v76, v43, v49
	v_pk_mul_f16 v77, 0xb9fdb5ac, v48 op_sel_hi:[1,0]
	v_pk_mul_f16 v69, 0xb9fdbbc4, v2 op_sel_hi:[1,0]
	v_pk_fma_f16 v72, 0xbb7bbbf1, v1, v55 op_sel_hi:[1,0,1] neg_lo:[0,1,0] neg_hi:[0,1,0]
	v_pk_add_f16 v68, v71, v68
	v_sub_f16_e32 v79, v62, v58
	v_pk_fma_f16 v78, 0x394ebb7b, v73, v77 op_sel_hi:[1,0,1] neg_lo:[0,1,0] neg_hi:[0,1,0]
	v_pk_mul_f16 v85, 0x2fb7b9fd, v76 op_sel_hi:[1,0]
	v_pk_fma_f16 v74, 0x394eb3a8, v8, v69 op_sel_hi:[1,0,1] neg_lo:[0,1,0] neg_hi:[0,1,0]
	v_pk_add_f16 v68, v68, v75
	v_pk_add_f16 v72, v72, v27 op_sel_hi:[1,0]
	v_pk_mul_f16 v71, 0x3b15b5ac, v9 op_sel_hi:[1,0]
	v_pk_mul_f16 v0, 0xbbc4b9fd, v0 op_sel_hi:[1,0]
	;; [unrolled: 1-line block ×3, first 2 shown]
	v_pk_add_f16 v68, v78, v68
	v_pk_fma_f16 v78, 0x3bf1b94e, v79, v85 op_sel_hi:[1,0,1] neg_lo:[0,1,0] neg_hi:[0,1,0]
	v_pk_add_f16 v72, v74, v72
	v_pk_fma_f16 v74, 0x37703b7b, v47, v71 op_sel_hi:[1,0,1] neg_lo:[0,1,0] neg_hi:[0,1,0]
	v_pk_mul_f16 v2, 0x3b152fb7, v2 op_sel_hi:[1,0]
	v_pk_mul_f16 v86, 0xbbc4388b, v76 op_sel_hi:[1,0]
	v_pk_add_f16 v68, v78, v68
	v_pk_fma_f16 v78, 0xb3a8b94e, v1, v0 op_sel_hi:[1,0,1] neg_lo:[0,1,0] neg_hi:[0,1,0]
	v_pk_fma_f16 v0, 0xb3a8b94e, v1, v0 op_sel_hi:[1,0,1]
	v_pk_add_f16 v72, v72, v74
	v_pk_fma_f16 v74, 0xbbf13770, v73, v75 op_sel_hi:[1,0,1] neg_lo:[0,1,0] neg_hi:[0,1,0]
	v_pk_fma_f16 v80, 0x37703bf1, v8, v2 op_sel_hi:[1,0,1] neg_lo:[0,1,0] neg_hi:[0,1,0]
	v_pk_add_f16 v78, v78, v27 op_sel_hi:[1,0]
	v_pk_mul_f16 v9, 0xb9fd388b, v9 op_sel_hi:[1,0]
	v_pk_add_f16 v0, v0, v27 op_sel_hi:[1,0]
	v_pk_fma_f16 v2, 0x37703bf1, v8, v2 op_sel_hi:[1,0,1]
	v_pk_add_f16 v72, v74, v72
	v_pk_fma_f16 v74, 0x33a8ba95, v79, v86 op_sel_hi:[1,0,1] neg_lo:[0,1,0] neg_hi:[0,1,0]
	v_pk_add_f16 v78, v80, v78
	v_pk_fma_f16 v80, 0xb94eba95, v47, v9 op_sel_hi:[1,0,1] neg_lo:[0,1,0] neg_hi:[0,1,0]
	v_pk_mul_f16 v48, 0x388bbbc4, v48 op_sel_hi:[1,0]
	v_pk_add_f16 v0, v2, v0
	v_pk_fma_f16 v2, 0xb94eba95, v47, v9 op_sel_hi:[1,0,1]
	v_pk_add_f16 v72, v74, v72
	v_add_f16_e32 v74, v44, v45
	v_pk_add_f16 v9, v78, v80
	v_pk_fma_f16 v78, 0x3a9533a8, v73, v48 op_sel_hi:[1,0,1] neg_lo:[0,1,0] neg_hi:[0,1,0]
	v_pk_mul_f16 v76, 0xb5ac3b15, v76 op_sel_hi:[1,0]
	v_pk_add_f16 v0, v0, v2
	v_pk_fma_f16 v2, 0x3a9533a8, v73, v48 op_sel_hi:[1,0,1]
	v_sub_f16_e32 v87, v60, v59
	v_pk_mul_f16 v88, 0x3b15bbc4, v74 op_sel_hi:[1,0]
	v_pk_mul_f16 v48, 0x388bb9fd, v74 op_sel_hi:[1,0]
	v_pk_add_f16 v9, v78, v9
	v_pk_fma_f16 v78, 0xbb7b3770, v79, v76 op_sel_hi:[1,0,1] neg_lo:[0,1,0] neg_hi:[0,1,0]
	v_pk_mul_f16 v74, 0x2fb7b5ac, v74 op_sel_hi:[1,0]
	v_pk_add_f16 v0, v2, v0
	v_pk_fma_f16 v2, 0xbb7b3770, v79, v76 op_sel_hi:[1,0,1]
	v_pk_fma_f16 v55, 0xbb7bbbf1, v1, v55 op_sel_hi:[1,0,1]
	v_pk_add_f16 v9, v78, v9
	v_pk_fma_f16 v78, 0x3bf1bb7b, v87, v74 op_sel_hi:[1,0,1] neg_lo:[0,1,0] neg_hi:[0,1,0]
	v_pk_fma_f16 v76, 0x3770b3a8, v87, v88 op_sel_hi:[1,0,1] neg_lo:[0,1,0] neg_hi:[0,1,0]
	v_pk_add_f16 v0, v2, v0
	v_pk_fma_f16 v2, 0x3bf1bb7b, v87, v74 op_sel_hi:[1,0,1]
	v_pk_fma_f16 v80, 0x3a95b94e, v87, v48 op_sel_hi:[1,0,1] neg_lo:[0,1,0] neg_hi:[0,1,0]
	v_pk_add_f16 v83, v78, v9
	v_pk_add_f16 v9, v55, v27 op_sel_hi:[1,0]
	v_sub_f16_e32 v55, v25, v16
	v_pk_add_f16 v2, v2, v0
	v_pk_fma_f16 v0, 0xba95b770, v1, v46 op_sel_hi:[1,0,1]
	v_and_b32_e32 v1, 1, v12
	v_pk_fma_f16 v12, 0x394eb3a8, v8, v69 op_sel_hi:[1,0,1]
	v_pk_fma_f16 v8, 0xbb7bba95, v8, v54 op_sel_hi:[1,0,1]
	v_alignbit_b32 v84, v2, v2, 16
	v_pk_add_f16 v46, v0, v27 op_sel_hi:[1,0]
	v_add_f16_e32 v54, v34, v38
	v_pk_add_f16 v9, v12, v9
	v_pk_fma_f16 v12, 0x37703b7b, v47, v71 op_sel_hi:[1,0,1]
	v_pk_add_f16 v81, v76, v68
	v_pk_add_f16 v8, v8, v46
	v_pk_fma_f16 v46, 0xb3a8bbf1, v47, v70 op_sel_hi:[1,0,1]
	v_pk_fma_f16 v47, 0x33a8ba95, v79, v86 op_sel_hi:[1,0,1]
	v_pk_add_f16 v2, v9, v12
	v_pk_fma_f16 v9, 0xbbf13770, v73, v75 op_sel_hi:[1,0,1]
	v_sub_f16_e32 v12, v26, v15
	v_pk_add_f16 v8, v8, v46
	v_pk_fma_f16 v46, 0x394ebb7b, v73, v77 op_sel_hi:[1,0,1]
	v_pk_fma_f16 v70, 0x3bf1b94e, v79, v85 op_sel_hi:[1,0,1]
	v_pk_add_f16 v9, v9, v2
	v_pk_mul_f16 v2, 0xba95b770, v12 op_sel_hi:[1,0]
	v_add_f16_e32 v68, v32, v37
	v_pk_add_f16 v46, v46, v8
	v_pk_mul_f16 v8, 0xbb7bba95, v55 op_sel_hi:[1,0]
	v_pk_add_f16 v47, v47, v9
	v_pk_fma_f16 v9, 0x388b3b15, v54, v2 op_sel_hi:[1,0,1] neg_lo:[0,0,1] neg_hi:[0,0,1]
	v_sub_f16_e32 v69, v24, v17
	v_pk_add_f16 v82, v80, v72
	v_pk_fma_f16 v48, 0x3a95b94e, v87, v48 op_sel_hi:[1,0,1]
	v_pk_add_f16 v46, v70, v46
	v_pk_add_f16 v70, v11, v9 op_sel_hi:[0,1]
	v_pk_fma_f16 v72, 0xb5ac388b, v68, v8 op_sel_hi:[1,0,1] neg_lo:[0,0,1] neg_hi:[0,0,1]
	v_add_f16_e32 v71, v29, v36
	v_pk_mul_f16 v9, 0xb3a8bbf1, v69 op_sel_hi:[1,0]
	v_pk_fma_f16 v73, 0x3770b3a8, v87, v88 op_sel_hi:[1,0,1]
	v_pk_add_f16 v47, v48, v47
	v_pk_add_f16 v48, v70, v72
	v_sub_f16_e32 v72, v23, v18
	v_pk_fma_f16 v74, 0xbbc42fb7, v71, v9 op_sel_hi:[1,0,1] neg_lo:[0,0,1] neg_hi:[0,0,1]
	v_pk_add_f16 v46, v73, v46
	v_pk_mul_f16 v73, 0xbb7bbbf1, v12 op_sel_hi:[1,0]
	v_add_f16_e32 v76, v31, v35
	v_pk_mul_f16 v70, 0x394ebb7b, v72 op_sel_hi:[1,0]
	v_pk_add_f16 v48, v48, v74
	v_sub_f16_e32 v74, v22, v19
	v_pk_fma_f16 v75, 0xb5ac2fb7, v54, v73 op_sel_hi:[1,0,1] neg_lo:[0,0,1] neg_hi:[0,0,1]
	v_pk_mul_f16 v78, 0x394eb3a8, v55 op_sel_hi:[1,0]
	v_pk_fma_f16 v79, 0xb9fdb5ac, v76, v70 op_sel_hi:[1,0,1] neg_lo:[0,0,1] neg_hi:[0,0,1]
	v_add_f16_e32 v77, v30, v33
	v_pk_mul_f16 v73, 0x3bf1b94e, v74 op_sel_hi:[1,0]
	v_pk_add_f16 v75, v11, v75 op_sel_hi:[0,1]
	v_pk_fma_f16 v78, 0xb9fdbbc4, v68, v78 op_sel_hi:[1,0,1] neg_lo:[0,0,1] neg_hi:[0,0,1]
	v_pk_mul_f16 v86, 0x37703b7b, v69 op_sel_hi:[1,0]
	v_add_f16_e32 v27, v27, v39
	v_alignbit_b32 v85, v47, v47, 16
	v_pk_add_f16 v47, v48, v79
	v_pk_fma_f16 v48, 0x2fb7b9fd, v77, v73 op_sel_hi:[1,0,1] neg_lo:[0,0,1] neg_hi:[0,0,1]
	v_pk_add_f16 v75, v75, v78
	v_pk_fma_f16 v79, 0x3b15b5ac, v71, v86 op_sel_hi:[1,0,1] neg_lo:[0,0,1] neg_hi:[0,0,1]
	v_pk_mul_f16 v87, 0xbbf13770, v72 op_sel_hi:[1,0]
	v_add_f16_e32 v27, v27, v40
	v_alignbit_b32 v86, v46, v46, 16
	v_pk_add_f16 v46, v47, v48
	v_sub_f16_e32 v78, v21, v20
	v_pk_add_f16 v47, v75, v79
	v_pk_fma_f16 v48, 0x2fb73b15, v76, v87 op_sel_hi:[1,0,1] neg_lo:[0,0,1] neg_hi:[0,0,1]
	v_pk_mul_f16 v87, 0x33a8ba95, v74 op_sel_hi:[1,0]
	v_add_f16_e32 v27, v27, v41
	v_add_f16_e32 v79, v13, v28
	v_pk_mul_f16 v89, 0xb3a8b94e, v12 op_sel_hi:[1,0]
	v_pk_add_f16 v47, v47, v48
	v_pk_fma_f16 v48, 0xbbc4388b, v77, v87 op_sel_hi:[1,0,1] neg_lo:[0,0,1] neg_hi:[0,0,1]
	v_pk_mul_f16 v87, 0x3a95b94e, v78 op_sel_hi:[1,0]
	v_add_f16_e32 v27, v27, v42
	v_pk_fma_f16 v90, 0xbbc4b9fd, v54, v89 op_sel_hi:[1,0,1] neg_lo:[0,0,1] neg_hi:[0,0,1]
	v_pk_mul_f16 v91, 0x37703bf1, v55 op_sel_hi:[1,0]
	v_pk_add_f16 v47, v47, v48
	v_pk_fma_f16 v48, 0x388bb9fd, v79, v87 op_sel_hi:[1,0,1] neg_lo:[0,0,1] neg_hi:[0,0,1]
	v_pk_mul_f16 v87, 0xbbc4b9fd, v54 op_sel_hi:[1,0]
	v_add_f16_e32 v27, v27, v43
	v_pk_mul_f16 v92, 0x3b152fb7, v68 op_sel_hi:[1,0]
	v_pk_mul_f16 v93, 0xb9fd388b, v71 op_sel_hi:[1,0]
	v_cmp_eq_u32_e64 s0, 1, v1
	v_add_f16_sdwa v87, v89, v87 dst_sel:DWORD dst_unused:UNUSED_PAD src0_sel:WORD_1 src1_sel:WORD_1
	v_add_f16_e32 v27, v27, v44
	v_pk_add_f16 v89, v11, v90 op_sel_hi:[0,1]
	v_pk_fma_f16 v90, 0x3b152fb7, v68, v91 op_sel_hi:[1,0,1] neg_lo:[0,0,1] neg_hi:[0,0,1]
	v_add_f16_sdwa v91, v91, v92 dst_sel:DWORD dst_unused:UNUSED_PAD src0_sel:WORD_1 src1_sel:WORD_1
	v_add_f16_e32 v87, v11, v87
	v_pk_mul_f16 v92, 0xb94eba95, v69 op_sel_hi:[1,0]
	v_add_f16_e32 v27, v27, v45
	v_pk_add_f16 v89, v89, v90
	v_pk_mul_f16 v75, 0x3770b3a8, v78 op_sel_hi:[1,0]
	v_add_f16_e32 v87, v87, v91
	v_pk_fma_f16 v90, 0xb9fd388b, v71, v92 op_sel_hi:[1,0,1] neg_lo:[0,0,1] neg_hi:[0,0,1]
	v_add_f16_sdwa v91, v92, v93 dst_sel:DWORD dst_unused:UNUSED_PAD src0_sel:WORD_1 src1_sel:WORD_1
	v_pk_mul_f16 v92, 0x3a9533a8, v72 op_sel_hi:[1,0]
	v_pk_mul_f16 v93, 0x388bbbc4, v76 op_sel_hi:[1,0]
	v_add_f16_e32 v27, v27, v49
	v_pk_add_f16 v89, v89, v90
	v_add_f16_e32 v87, v87, v91
	v_pk_fma_f16 v90, 0x388bbbc4, v76, v92 op_sel_hi:[1,0,1] neg_lo:[0,0,1] neg_hi:[0,0,1]
	v_add_f16_sdwa v91, v92, v93 dst_sel:DWORD dst_unused:UNUSED_PAD src0_sel:WORD_1 src1_sel:WORD_1
	v_pk_mul_f16 v92, 0xbb7b3770, v74 op_sel_hi:[1,0]
	v_pk_mul_f16 v93, 0xb5ac3b15, v77 op_sel_hi:[1,0]
	v_add_f16_e32 v27, v27, v50
	v_pk_add_f16 v89, v89, v90
	v_add_f16_e32 v87, v87, v91
	v_pk_fma_f16 v90, 0xb5ac3b15, v77, v92 op_sel_hi:[1,0,1] neg_lo:[0,0,1] neg_hi:[0,0,1]
	v_add_f16_sdwa v91, v92, v93 dst_sel:DWORD dst_unused:UNUSED_PAD src0_sel:WORD_1 src1_sel:WORD_1
	v_pk_mul_f16 v92, 0x3bf1bb7b, v78 op_sel_hi:[1,0]
	v_pk_mul_f16 v93, 0x2fb7b5ac, v79 op_sel_hi:[1,0]
	v_add_f16_e32 v27, v27, v52
	v_cndmask_b32_e64 v1, 0, 0x555, s0
	v_mad_u32_u24 v0, v10, 26, 0
	v_pk_fma_f16 v88, 0x3b15bbc4, v79, v75 op_sel_hi:[1,0,1] neg_lo:[0,0,1] neg_hi:[0,0,1]
	v_pk_add_f16 v89, v89, v90
	v_add_f16_e32 v87, v87, v91
	v_pk_fma_f16 v90, 0x2fb7b5ac, v79, v92 op_sel_hi:[1,0,1] neg_lo:[0,0,1] neg_hi:[0,0,1]
	v_add_f16_sdwa v91, v92, v93 dst_sel:DWORD dst_unused:UNUSED_PAD src0_sel:WORD_1 src1_sel:WORD_1
	v_add_f16_e32 v92, v27, v51
	v_lshl_add_u32 v80, v1, 1, v0
	v_pk_add_f16 v27, v46, v88
	v_pk_add_f16 v47, v47, v48
	;; [unrolled: 1-line block ×3, first 2 shown]
	v_add_f16_e32 v46, v87, v91
	v_cmp_gt_u32_e64 s1, 14, v10
	v_add_f16_e32 v87, v53, v92
	ds_write_b128 v80, v[81:84] offset:2
	ds_write_b64 v80, v[85:86] offset:18
	ds_write_b16 v80, v87
	s_and_saveexec_b32 s0, s1
	s_cbranch_execz .LBB0_17
; %bb.16:
	v_add_f16_e32 v81, v11, v34
	v_pack_b32_f16 v82, v54, v54
	v_pk_mul_f16 v54, 0x388b3b15, v54 op_sel_hi:[1,0]
	v_pack_b32_f16 v84, v68, v68
	v_pk_mul_f16 v68, 0xb5ac388b, v68 op_sel_hi:[1,0]
	v_add_f16_e32 v81, v81, v32
	v_pack_b32_f16 v85, v71, v71
	v_pk_mul_f16 v71, 0xbbc42fb7, v71 op_sel_hi:[1,0]
	v_pack_b32_f16 v86, v76, v76
	v_pk_mul_f16 v76, 0xb9fdb5ac, v76 op_sel_hi:[1,0]
	v_add_f16_e32 v81, v81, v29
	v_add_f16_e32 v2, v2, v54
	v_pack_b32_f16 v12, v12, v12
	v_pack_b32_f16 v87, v77, v77
	v_pk_mul_f16 v77, 0x2fb7b9fd, v77 op_sel_hi:[1,0]
	v_add_f16_e32 v81, v81, v31
	v_pack_b32_f16 v88, v79, v79
	v_pk_mul_f16 v79, 0x3b15bbc4, v79 op_sel_hi:[1,0]
	v_add_f16_e32 v8, v8, v68
	v_add_f16_e32 v9, v9, v71
	v_add_f16_e32 v81, v81, v30
	v_add_f16_e32 v68, v70, v76
	v_pk_mul_f16 v71, 0xb5acb9fd, v82
	v_add_f16_e32 v2, v11, v2
	v_pk_mul_f16 v76, 0x388b2fb7, v82
	v_add_f16_e32 v54, v81, v13
	v_perm_b32 v83, v11, v11, 0x5040100
	v_pack_b32_f16 v55, v55, v55
	v_pack_b32_f16 v69, v69, v69
	v_add_f16_e32 v70, v73, v77
	v_add_f16_e32 v54, v54, v28
	;; [unrolled: 1-line block ×3, first 2 shown]
	v_pk_mul_f16 v75, 0xb9fd2fb7, v84
	v_pk_mul_f16 v77, 0xb5acbbc4, v84
	v_add_f16_e32 v2, v2, v8
	v_add_f16_e32 v11, v33, v54
	v_pk_mul_f16 v54, 0x3b15388b, v85
	v_pk_fma_f16 v71, 0xbb7bb94e, v12, v71
	v_pk_fma_f16 v12, 0xba95bbf1, v12, v76
	v_pk_fma_f16 v75, 0x394e3bf1, v55, v75
	v_add_f16_e32 v8, v35, v11
	v_pk_mul_f16 v11, 0xbbc4b5ac, v85
	v_add_f16_e32 v2, v2, v9
	v_pk_fma_f16 v9, 0x3770ba95, v69, v54
	v_pk_add_f16 v54, v83, v71
	v_pk_fma_f16 v55, 0xbb7bb3a8, v55, v77
	v_pk_add_f16 v12, v83, v12
	v_pack_b32_f16 v72, v72, v72
	v_add_f16_e32 v8, v36, v8
	v_add_f16_e32 v2, v2, v68
	v_pk_add_f16 v54, v54, v75
	v_pk_mul_f16 v68, 0x2fb7bbc4, v86
	v_pk_add_f16 v12, v12, v55
	v_pk_fma_f16 v11, 0xb3a83b7b, v69, v11
	v_pk_mul_f16 v55, 0xb9fd3b15, v86
	v_pack_b32_f16 v74, v74, v74
	v_add_f16_e32 v8, v37, v8
	v_pk_add_f16 v9, v54, v9
	v_pk_fma_f16 v54, 0xbbf133a8, v72, v68
	v_pk_mul_f16 v68, 0xbbc43b15, v87
	v_pk_add_f16 v11, v12, v11
	v_pk_fma_f16 v12, 0x394e3770, v72, v55
	v_pk_mul_f16 v55, 0x2fb7388b, v87
	v_pack_b32_f16 v78, v78, v78
	v_add_f16_e32 v8, v38, v8
	v_pk_add_f16 v9, v9, v54
	v_pk_fma_f16 v54, 0x33a83770, v74, v68
	v_pk_mul_f16 v69, 0x388bb5ac, v88
	v_pk_add_f16 v11, v11, v12
	v_pk_fma_f16 v12, 0x3bf1ba95, v74, v55
	v_pk_mul_f16 v55, 0x3b15b9fd, v88
	v_perm_b32 v68, v27, v8, 0x5040100
	v_pk_add_f16 v8, v9, v54
	v_pk_fma_f16 v9, 0x3a95bb7b, v78, v69
	v_pk_add_f16 v11, v11, v12
	v_pk_fma_f16 v12, 0x3770b94e, v78, v55
	v_add_f16_e32 v2, v2, v70
	v_alignbit_b32 v71, v46, v48, 16
	v_alignbit_b32 v70, v48, v47, 16
	;; [unrolled: 1-line block ×3, first 2 shown]
	v_pk_add_f16 v8, v8, v9
	v_pk_add_f16 v9, v11, v12
	v_add_f16_e32 v2, v2, v73
	ds_write_b128 v80, v[68:71] offset:2366
	ds_write_b64 v80, v[8:9] offset:2382
	ds_write_b16 v80, v2 offset:2390
.LBB0_17:
	s_or_b32 exec_lo, exec_lo, s0
	v_lshlrev_b32_e32 v9, 1, v1
	v_lshlrev_b32_e32 v8, 1, v10
	v_mul_i32_i24_e32 v1, 0xffffffe8, v10
	s_waitcnt lgkmcnt(0)
	s_barrier
	buffer_gl0_inv
	v_add3_u32 v11, 0, v9, v8
	v_add3_u32 v12, v0, v1, v9
	v_cmp_gt_u32_e64 s0, 13, v10
	ds_read_u16 v54, v11
	ds_read_u16 v74, v12 offset:1560
	ds_read_u16 v68, v12 offset:1352
	ds_read_u16 v77, v12 offset:1170
	ds_read_u16 v70, v12 offset:962
	ds_read_u16 v78, v12 offset:780
	ds_read_u16 v72, v12 offset:572
	ds_read_u16 v79, v12 offset:390
	ds_read_u16 v55, v12 offset:182
	ds_read_u16 v69, v12 offset:2522
	ds_read_u16 v75, v12 offset:2340
	ds_read_u16 v71, v12 offset:2132
	ds_read_u16 v76, v12 offset:1950
	ds_read_u16 v73, v12 offset:1742
	s_and_saveexec_b32 s4, s0
	s_cbranch_execz .LBB0_19
; %bb.18:
	ds_read_u16 v27, v12 offset:364
	ds_read_u16 v47, v12 offset:1144
	;; [unrolled: 1-line block ×4, first 2 shown]
	s_waitcnt lgkmcnt(3)
	ds_read_u16_d16_hi v27, v12 offset:754
	s_waitcnt lgkmcnt(3)
	ds_read_u16_d16_hi v47, v12 offset:1534
	;; [unrolled: 2-line block ×3, first 2 shown]
.LBB0_19:
	s_or_b32 exec_lo, exec_lo, s4
	v_add_f16_e32 v0, v3, v66
	v_sub_f16_e32 v2, v39, v53
	v_add_f16_e32 v1, v61, v66
	v_sub_f16_e32 v40, v40, v51
	v_sub_f16_e32 v41, v41, v52
	v_add_f16_e32 v0, v0, v67
	v_sub_f16_e32 v44, v44, v45
	v_pk_mul_f16 v45, 0xba95b770, v2 op_sel_hi:[1,0]
	v_add_f16_e32 v39, v67, v56
	v_add_f16_e32 v51, v63, v65
	;; [unrolled: 1-line block ×4, first 2 shown]
	v_sub_f16_e32 v43, v43, v49
	v_pk_mul_f16 v49, 0xbb7bba95, v40 op_sel_hi:[1,0]
	v_pk_fma_f16 v82, 0x388b3b15, v1, v45 op_sel_hi:[1,0,1]
	v_add_f16_e32 v0, v0, v64
	v_pk_mul_f16 v64, 0xb3a8bbf1, v41 op_sel_hi:[1,0]
	v_sub_f16_e32 v42, v42, v50
	v_add_f16_e32 v50, v62, v58
	v_pk_fma_f16 v83, 0xb5ac388b, v39, v49 op_sel_hi:[1,0,1]
	v_add_f16_e32 v0, v0, v62
	v_pk_mul_f16 v62, 0x3bf1b94e, v43 op_sel_hi:[1,0]
	v_pk_fma_f16 v84, 0xbbc42fb7, v51, v64 op_sel_hi:[1,0,1]
	v_pk_fma_f16 v45, 0x388b3b15, v1, v45 op_sel_hi:[1,0,1] neg_lo:[0,0,1] neg_hi:[0,0,1]
	v_pk_mul_f16 v65, 0x394ebb7b, v42 op_sel_hi:[1,0]
	v_add_f16_e32 v0, v0, v60
	v_pk_mul_f16 v67, 0xbb7bbbf1, v2 op_sel_hi:[1,0]
	v_pk_fma_f16 v85, 0x2fb7b9fd, v50, v62 op_sel_hi:[1,0,1]
	v_pk_fma_f16 v49, 0xb5ac388b, v39, v49 op_sel_hi:[1,0,1] neg_lo:[0,0,1] neg_hi:[0,0,1]
	v_pk_add_f16 v45, v45, v3 op_sel_hi:[1,0]
	v_add_f16_e32 v0, v0, v59
	v_add_f16_e32 v53, v60, v59
	v_pk_mul_f16 v81, 0x394eb3a8, v40 op_sel_hi:[1,0]
	v_pk_fma_f16 v59, 0xb9fdb5ac, v52, v65 op_sel_hi:[1,0,1]
	v_pk_add_f16 v45, v49, v45
	v_add_f16_e32 v0, v0, v58
	v_pk_fma_f16 v58, 0xbbc42fb7, v51, v64 op_sel_hi:[1,0,1] neg_lo:[0,0,1] neg_hi:[0,0,1]
	v_pk_add_f16 v64, v82, v3 op_sel_hi:[1,0]
	v_pk_mul_f16 v66, 0x3770b3a8, v44 op_sel_hi:[1,0]
	v_pk_mul_f16 v60, 0x37703b7b, v41 op_sel_hi:[1,0]
	v_add_f16_e32 v0, v0, v57
	v_pk_fma_f16 v57, 0x2fb7b9fd, v50, v62 op_sel_hi:[1,0,1] neg_lo:[0,0,1] neg_hi:[0,0,1]
	v_pk_add_f16 v62, v83, v64
	v_pk_fma_f16 v64, 0xb5ac2fb7, v1, v67 op_sel_hi:[1,0,1]
	v_pk_fma_f16 v65, 0xb9fdb5ac, v52, v65 op_sel_hi:[1,0,1] neg_lo:[0,0,1] neg_hi:[0,0,1]
	v_add_f16_e32 v0, v0, v63
	v_pk_fma_f16 v49, 0xb9fdbbc4, v39, v81 op_sel_hi:[1,0,1]
	v_pk_add_f16 v62, v62, v84
	v_pk_add_f16 v63, v64, v3 op_sel_hi:[1,0]
	v_pk_add_f16 v45, v45, v58
	v_add_f16_e32 v0, v0, v56
	v_pk_fma_f16 v56, 0x3b15b5ac, v51, v60 op_sel_hi:[1,0,1]
	v_pk_add_f16 v58, v59, v62
	v_pk_add_f16 v49, v49, v63
	;; [unrolled: 1-line block ×3, first 2 shown]
	v_add_f16_e32 v59, v61, v0
	v_pk_fma_f16 v61, 0x3b15bbc4, v53, v66 op_sel_hi:[1,0,1]
	v_pk_add_f16 v58, v85, v58
	v_pk_add_f16 v56, v49, v56
	;; [unrolled: 1-line block ×3, first 2 shown]
	v_pk_fma_f16 v63, 0x3b15bbc4, v53, v66 op_sel_hi:[1,0,1] neg_lo:[0,0,1] neg_hi:[0,0,1]
	v_pk_mul_f16 v2, 0xb3a8b94e, v2 op_sel_hi:[1,0]
	v_pk_add_f16 v49, v61, v58
	v_pk_fma_f16 v58, 0xb5ac2fb7, v1, v67 op_sel_hi:[1,0,1] neg_lo:[0,0,1] neg_hi:[0,0,1]
	v_pk_mul_f16 v0, 0xbbf13770, v42 op_sel_hi:[1,0]
	v_pk_add_f16 v61, v63, v45
	v_pk_fma_f16 v63, 0xbbc4b9fd, v1, v2 op_sel_hi:[1,0,1]
	v_pk_mul_f16 v40, 0x37703bf1, v40 op_sel_hi:[1,0]
	v_pk_add_f16 v45, v58, v3 op_sel_hi:[1,0]
	v_pk_fma_f16 v58, 0xb9fdbbc4, v39, v81 op_sel_hi:[1,0,1] neg_lo:[0,0,1] neg_hi:[0,0,1]
	v_pk_fma_f16 v1, 0xbbc4b9fd, v1, v2 op_sel_hi:[1,0,1] neg_lo:[0,0,1] neg_hi:[0,0,1]
	v_pk_fma_f16 v57, 0x2fb73b15, v52, v0 op_sel_hi:[1,0,1]
	v_pk_mul_f16 v62, 0x33a8ba95, v43 op_sel_hi:[1,0]
	v_pk_add_f16 v63, v63, v3 op_sel_hi:[1,0]
	v_pk_add_f16 v45, v58, v45
	v_pk_fma_f16 v58, 0x3b15b5ac, v51, v60 op_sel_hi:[1,0,1] neg_lo:[0,0,1] neg_hi:[0,0,1]
	v_pk_fma_f16 v64, 0x3b152fb7, v39, v40 op_sel_hi:[1,0,1]
	v_pk_mul_f16 v41, 0xb94eba95, v41 op_sel_hi:[1,0]
	v_pk_add_f16 v1, v1, v3 op_sel_hi:[1,0]
	v_pk_fma_f16 v3, 0x3b152fb7, v39, v40 op_sel_hi:[1,0,1] neg_lo:[0,0,1] neg_hi:[0,0,1]
	v_pk_add_f16 v56, v57, v56
	v_pk_fma_f16 v57, 0xbbc4388b, v50, v62 op_sel_hi:[1,0,1]
	v_pk_add_f16 v45, v45, v58
	v_pk_fma_f16 v0, 0x2fb73b15, v52, v0 op_sel_hi:[1,0,1] neg_lo:[0,0,1] neg_hi:[0,0,1]
	v_pk_add_f16 v2, v64, v63
	v_pk_fma_f16 v58, 0xb9fd388b, v51, v41 op_sel_hi:[1,0,1]
	v_pk_mul_f16 v42, 0x3a9533a8, v42 op_sel_hi:[1,0]
	v_pk_add_f16 v1, v3, v1
	v_pk_fma_f16 v3, 0xb9fd388b, v51, v41 op_sel_hi:[1,0,1] neg_lo:[0,0,1] neg_hi:[0,0,1]
	v_pk_add_f16 v56, v57, v56
	v_pk_mul_f16 v57, 0x3a95b94e, v44 op_sel_hi:[1,0]
	v_pk_add_f16 v0, v0, v45
	v_pk_add_f16 v2, v2, v58
	v_pk_fma_f16 v39, 0x388bbbc4, v52, v42 op_sel_hi:[1,0,1]
	v_pk_mul_f16 v40, 0xbb7b3770, v43 op_sel_hi:[1,0]
	v_pk_fma_f16 v41, 0xbbc4388b, v50, v62 op_sel_hi:[1,0,1] neg_lo:[0,0,1] neg_hi:[0,0,1]
	v_pk_add_f16 v1, v1, v3
	v_pk_fma_f16 v3, 0x388bbbc4, v52, v42 op_sel_hi:[1,0,1] neg_lo:[0,0,1] neg_hi:[0,0,1]
	v_pk_fma_f16 v60, 0x388bb9fd, v53, v57 op_sel_hi:[1,0,1]
	v_pk_add_f16 v2, v39, v2
	v_pk_fma_f16 v39, 0xb5ac3b15, v50, v40 op_sel_hi:[1,0,1]
	v_pk_mul_f16 v43, 0x3bf1bb7b, v44 op_sel_hi:[1,0]
	v_pk_add_f16 v0, v41, v0
	v_pk_fma_f16 v41, 0x388bb9fd, v53, v57 op_sel_hi:[1,0,1] neg_lo:[0,0,1] neg_hi:[0,0,1]
	v_pk_add_f16 v1, v3, v1
	v_pk_fma_f16 v3, 0xb5ac3b15, v50, v40 op_sel_hi:[1,0,1] neg_lo:[0,0,1] neg_hi:[0,0,1]
	v_sub_f16_e32 v44, v34, v38
	v_pk_add_f16 v2, v39, v2
	v_pk_fma_f16 v39, 0x2fb7b5ac, v53, v43 op_sel_hi:[1,0,1]
	v_pk_add_f16 v50, v60, v56
	v_pk_add_f16 v56, v41, v0
	;; [unrolled: 1-line block ×3, first 2 shown]
	v_add_f16_e32 v34, v26, v15
	v_pk_mul_f16 v3, 0xba95b770, v44 op_sel_hi:[1,0]
	v_sub_f16_e32 v1, v32, v37
	v_pk_add_f16 v51, v39, v2
	v_add_f16_e32 v37, v25, v16
	v_sub_f16_e32 v45, v29, v36
	v_pk_fma_f16 v39, 0x388b3b15, v34, v3 op_sel_hi:[1,0,1]
	v_pk_mul_f16 v32, 0xbb7bba95, v1 op_sel_hi:[1,0]
	v_add_f16_e32 v38, v24, v17
	v_sub_f16_e32 v52, v31, v35
	v_pk_mul_f16 v29, 0xb3a8bbf1, v45 op_sel_hi:[1,0]
	v_pk_add_f16 v31, v14, v39 op_sel_hi:[0,1]
	v_pk_fma_f16 v35, 0xb5ac388b, v37, v32 op_sel_hi:[1,0,1]
	v_sub_f16_e32 v39, v30, v33
	v_pk_mul_f16 v33, 0xbb7bbbf1, v44 op_sel_hi:[1,0]
	v_add_f16_e32 v40, v23, v18
	v_pk_fma_f16 v36, 0xbbc42fb7, v38, v29 op_sel_hi:[1,0,1]
	v_pk_add_f16 v31, v31, v35
	v_pk_mul_f16 v30, 0x394ebb7b, v52 op_sel_hi:[1,0]
	v_pk_fma_f16 v41, 0xb5ac2fb7, v34, v33 op_sel_hi:[1,0,1]
	v_pk_mul_f16 v35, 0x394eb3a8, v1 op_sel_hi:[1,0]
	v_pk_fma_f16 v2, 0x2fb7b5ac, v53, v43 op_sel_hi:[1,0,1] neg_lo:[0,0,1] neg_hi:[0,0,1]
	v_add_f16_e32 v42, v22, v19
	v_pk_add_f16 v53, v31, v36
	v_pk_fma_f16 v57, 0xb9fdb5ac, v40, v30 op_sel_hi:[1,0,1]
	v_pk_mul_f16 v31, 0x3bf1b94e, v39 op_sel_hi:[1,0]
	v_pk_add_f16 v41, v14, v41 op_sel_hi:[0,1]
	v_pk_fma_f16 v58, 0xb9fdbbc4, v37, v35 op_sel_hi:[1,0,1]
	v_pk_mul_f16 v36, 0x37703b7b, v45 op_sel_hi:[1,0]
	v_sub_f16_e32 v13, v13, v28
	v_pk_add_f16 v53, v53, v57
	v_pk_fma_f16 v57, 0x2fb7b9fd, v42, v31 op_sel_hi:[1,0,1]
	v_pk_add_f16 v58, v41, v58
	v_pk_fma_f16 v60, 0x3b15b5ac, v38, v36 op_sel_hi:[1,0,1]
	v_pk_mul_f16 v28, 0xbbf13770, v52 op_sel_hi:[1,0]
	v_pk_mul_f16 v44, 0xb3a8b94e, v44 op_sel_hi:[1,0]
	v_pk_add_f16 v53, v53, v57
	v_pk_mul_f16 v1, 0x37703bf1, v1 op_sel_hi:[1,0]
	v_pk_add_f16 v57, v58, v60
	v_pk_fma_f16 v58, 0x2fb73b15, v40, v28 op_sel_hi:[1,0,1]
	v_pk_fma_f16 v60, 0xbbc4b9fd, v34, v44 op_sel_hi:[1,0,1]
	v_pk_fma_f16 v44, 0xbbc4b9fd, v34, v44 op_sel_hi:[1,0,1] neg_lo:[0,0,1] neg_hi:[0,0,1]
	v_pk_mul_f16 v45, 0xb94eba95, v45 op_sel_hi:[1,0]
	v_pk_mul_f16 v52, 0x3a9533a8, v52 op_sel_hi:[1,0]
	v_pk_add_f16 v57, v57, v58
	v_pk_add_f16 v58, v14, v60 op_sel_hi:[0,1]
	v_pk_fma_f16 v60, 0x3b152fb7, v37, v1 op_sel_hi:[1,0,1]
	v_pk_add_f16 v63, v14, v44 op_sel_hi:[0,1]
	v_pk_fma_f16 v1, 0x3b152fb7, v37, v1 op_sel_hi:[1,0,1] neg_lo:[0,0,1] neg_hi:[0,0,1]
	v_pk_mul_f16 v44, 0x33a8ba95, v39 op_sel_hi:[1,0]
	v_pk_mul_f16 v39, 0xbb7b3770, v39 op_sel_hi:[1,0]
	v_pk_add_f16 v58, v58, v60
	v_pk_fma_f16 v60, 0xb9fd388b, v38, v45 op_sel_hi:[1,0,1]
	v_pk_add_f16 v1, v63, v1
	v_pk_fma_f16 v45, 0xb9fd388b, v38, v45 op_sel_hi:[1,0,1] neg_lo:[0,0,1] neg_hi:[0,0,1]
	v_add_f16_e32 v43, v21, v20
	v_pk_mul_f16 v41, 0x3770b3a8, v13 op_sel_hi:[1,0]
	v_pk_add_f16 v58, v58, v60
	v_pk_fma_f16 v60, 0x388bbbc4, v40, v52 op_sel_hi:[1,0,1]
	v_pk_add_f16 v1, v1, v45
	v_pk_fma_f16 v52, 0x388bbbc4, v40, v52 op_sel_hi:[1,0,1] neg_lo:[0,0,1] neg_hi:[0,0,1]
	v_pk_fma_f16 v63, 0xbbc4388b, v42, v44 op_sel_hi:[1,0,1]
	v_pk_mul_f16 v45, 0x3a95b94e, v13 op_sel_hi:[1,0]
	v_pk_add_f16 v58, v58, v60
	v_pk_fma_f16 v60, 0xb5ac3b15, v42, v39 op_sel_hi:[1,0,1]
	v_pk_mul_f16 v13, 0x3bf1bb7b, v13 op_sel_hi:[1,0]
	v_pk_add_f16 v1, v1, v52
	v_pk_fma_f16 v39, 0xb5ac3b15, v42, v39 op_sel_hi:[1,0,1] neg_lo:[0,0,1] neg_hi:[0,0,1]
	v_pk_fma_f16 v62, 0x3b15bbc4, v43, v41 op_sel_hi:[1,0,1]
	v_pk_add_f16 v52, v57, v63
	v_pk_fma_f16 v57, 0x388bb9fd, v43, v45 op_sel_hi:[1,0,1]
	v_pk_add_f16 v58, v58, v60
	;; [unrolled: 2-line block ×3, first 2 shown]
	v_pk_fma_f16 v13, 0x2fb7b5ac, v43, v13 op_sel_hi:[1,0,1] neg_lo:[0,0,1] neg_hi:[0,0,1]
	v_pk_add_f16 v63, v2, v0
	v_pk_add_f16 v0, v53, v62
	;; [unrolled: 1-line block ×5, first 2 shown]
	v_add_nc_u32_e32 v13, 0x5b, v10
	v_alignbit_b32 v52, v63, v63, 16
	v_alignbit_b32 v56, v56, v56, 16
	;; [unrolled: 1-line block ×3, first 2 shown]
	s_waitcnt lgkmcnt(0)
	s_barrier
	buffer_gl0_inv
	ds_write_b16 v80, v59
	ds_write_b128 v80, v[49:52] offset:2
	ds_write_b64 v80, v[56:57] offset:18
	s_and_saveexec_b32 s4, s1
	s_cbranch_execz .LBB0_21
; %bb.20:
	v_add_f16_e32 v26, v14, v26
	v_pk_mul_f16 v49, 0x388b3b15, v34 op_sel_hi:[1,0]
	v_pk_mul_f16 v34, 0xb5ac2fb7, v34 op_sel_hi:[1,0]
	v_perm_b32 v14, v14, v14, 0x5040100
	v_pk_mul_f16 v50, 0xbbc42fb7, v38 op_sel_hi:[1,0]
	v_add_f16_e32 v25, v26, v25
	v_pk_mul_f16 v26, 0xb5ac388b, v37 op_sel_hi:[1,0]
	v_pk_mul_f16 v37, 0xb9fdbbc4, v37 op_sel_hi:[1,0]
	v_pk_add_f16 v33, v34, v33 neg_lo:[0,1] neg_hi:[0,1]
	v_pk_add_f16 v3, v49, v3 neg_lo:[0,1] neg_hi:[0,1]
	v_add_f16_e32 v24, v25, v24
	v_pk_mul_f16 v38, 0x3b15b5ac, v38 op_sel_hi:[1,0]
	v_pk_mul_f16 v51, 0xb9fdb5ac, v40 op_sel_hi:[1,0]
	;; [unrolled: 1-line block ×3, first 2 shown]
	v_pk_add_f16 v3, v14, v3
	v_add_f16_e32 v23, v24, v23
	v_pk_mul_f16 v24, 0x2fb73b15, v40 op_sel_hi:[1,0]
	v_pk_mul_f16 v40, 0xbbc4388b, v42 op_sel_hi:[1,0]
	;; [unrolled: 1-line block ×4, first 2 shown]
	v_add_f16_e32 v22, v23, v22
	v_pk_add_f16 v23, v26, v32 neg_lo:[0,1] neg_hi:[0,1]
	v_pk_add_f16 v26, v37, v35 neg_lo:[0,1] neg_hi:[0,1]
	v_pk_add_f16 v32, v14, v33
	v_pk_add_f16 v14, v50, v29 neg_lo:[0,1] neg_hi:[0,1]
	v_add_f16_e32 v21, v22, v21
	v_pk_add_f16 v22, v38, v36 neg_lo:[0,1] neg_hi:[0,1]
	v_pk_add_f16 v3, v3, v23
	v_pk_add_f16 v26, v32, v26
	v_pk_add_f16 v23, v24, v28 neg_lo:[0,1] neg_hi:[0,1]
	v_add_f16_e32 v20, v21, v20
	v_pk_add_f16 v21, v51, v30 neg_lo:[0,1] neg_hi:[0,1]
	v_pk_add_f16 v3, v3, v14
	;; [unrolled: 5-line block ×4, first 2 shown]
	v_pk_add_f16 v20, v22, v20
	v_mul_u32_u24_e32 v14, 26, v13
	v_add_f16_e32 v17, v17, v18
	v_pk_add_f16 v18, v20, v21
	v_add_f16_e32 v16, v16, v17
	v_pk_add_f16 v17, v3, v19
	v_alignbit_b32 v3, v39, v39, 16
	v_add3_u32 v19, 0, v14, v9
	v_alignbit_b32 v14, v18, v18, 16
	v_add_f16_e32 v16, v15, v16
	v_alignbit_b32 v15, v17, v17, 16
	ds_write_b128 v19, v[0:3] offset:2
	ds_write_b16 v19, v16
	ds_write_b64 v19, v[14:15] offset:18
.LBB0_21:
	s_or_b32 exec_lo, exec_lo, s4
	s_waitcnt lgkmcnt(0)
	s_barrier
	buffer_gl0_inv
	ds_read_u16 v16, v11
	ds_read_u16 v23, v12 offset:1560
	ds_read_u16 v17, v12 offset:1352
	;; [unrolled: 1-line block ×13, first 2 shown]
	v_lshrrev_b32_e32 v20, 16, v39
	s_and_saveexec_b32 s1, s0
	s_cbranch_execz .LBB0_23
; %bb.22:
	ds_read_u16 v0, v12 offset:364
	ds_read_u16 v1, v12 offset:1144
	;; [unrolled: 1-line block ×4, first 2 shown]
	s_waitcnt lgkmcnt(3)
	ds_read_u16_d16_hi v0, v12 offset:754
	s_waitcnt lgkmcnt(3)
	ds_read_u16_d16_hi v1, v12 offset:1534
	;; [unrolled: 2-line block ×3, first 2 shown]
.LBB0_23:
	s_or_b32 exec_lo, exec_lo, s1
	v_and_b32_e32 v3, 0xff, v10
	v_mov_b32_e32 v31, 6
	v_mov_b32_e32 v58, 1
	v_lshrrev_b32_e32 v86, 16, v27
	v_lshrrev_b32_e32 v87, 16, v47
	v_mul_lo_u16 v3, 0x4f, v3
	s_waitcnt lgkmcnt(1)
	v_lshrrev_b32_e32 v88, 16, v1
	s_waitcnt lgkmcnt(0)
	v_lshrrev_b32_e32 v90, 16, v2
	v_lshrrev_b32_e32 v89, 16, v48
	v_lshrrev_b16 v26, 10, v3
	v_and_b32_e32 v3, 0xff, v13
	v_mul_lo_u16 v15, v26, 13
	v_mul_lo_u16 v3, 0x4f, v3
	v_and_b32_e32 v26, 0xffff, v26
	v_sub_nc_u16 v32, v10, v15
	v_lshrrev_b16 v42, 10, v3
	v_add_nc_u32_e32 v3, 0xb6, v10
	v_mov_b32_e32 v15, 0x4ec5
	v_mad_u32_u24 v26, 0xb6, v26, 0
	v_mul_u32_u24_sdwa v34, v32, v31 dst_sel:DWORD dst_unused:UNUSED_PAD src0_sel:BYTE_0 src1_sel:DWORD
	v_mul_lo_u16 v35, v42, 13
	v_mul_u32_u24_sdwa v15, v3, v15 dst_sel:DWORD dst_unused:UNUSED_PAD src0_sel:WORD_0 src1_sel:DWORD
	v_lshlrev_b32_e32 v38, 2, v34
	v_sub_nc_u16 v43, v13, v35
	v_lshrrev_b32_e32 v15, 18, v15
	s_clause 0x1
	global_load_dwordx4 v[34:37], v38, s[12:13]
	global_load_dwordx2 v[80:81], v38, s[12:13] offset:16
	v_mul_u32_u24_sdwa v39, v43, v31 dst_sel:DWORD dst_unused:UNUSED_PAD src0_sel:BYTE_0 src1_sel:DWORD
	v_mul_lo_u16 v15, v15, 13
	v_lshlrev_b32_e32 v44, 2, v39
	v_sub_nc_u16 v15, v3, v15
	global_load_dwordx4 v[38:41], v44, s[12:13]
	v_mul_u32_u24_sdwa v31, v15, v31 dst_sel:DWORD dst_unused:UNUSED_PAD src0_sel:WORD_0 src1_sel:DWORD
	v_lshlrev_b32_e32 v31, 2, v31
	s_clause 0x2
	global_load_dwordx2 v[82:83], v44, s[12:13] offset:16
	global_load_dwordx4 v[64:67], v31, s[12:13]
	global_load_dwordx2 v[84:85], v31, s[12:13] offset:16
	v_and_b32_e32 v31, 0xffff, v42
	v_lshrrev_b32_e32 v42, 16, v0
	s_waitcnt vmcnt(0)
	s_barrier
	buffer_gl0_inv
	v_mad_u32_u24 v44, 0xb6, v31, 0
	v_lshlrev_b32_sdwa v31, v58, v32 dst_sel:DWORD dst_unused:UNUSED_PAD src0_sel:DWORD src1_sel:BYTE_0
	v_lshlrev_b32_sdwa v32, v58, v43 dst_sel:DWORD dst_unused:UNUSED_PAD src0_sel:DWORD src1_sel:BYTE_0
	v_add3_u32 v31, v26, v31, v9
	v_add3_u32 v26, v44, v32, v9
	v_mul_f16_sdwa v32, v33, v34 dst_sel:DWORD dst_unused:UNUSED_PAD src0_sel:DWORD src1_sel:WORD_1
	v_mul_f16_sdwa v62, v30, v35 dst_sel:DWORD dst_unused:UNUSED_PAD src0_sel:DWORD src1_sel:WORD_1
	;; [unrolled: 1-line block ×16, first 2 shown]
	v_fma_f16 v61, v79, v34, -v32
	v_fma_f16 v62, v78, v35, -v62
	v_fmac_f16_e32 v56, v30, v35
	v_fma_f16 v30, v77, v36, -v63
	v_mul_f16_sdwa v98, v21, v82 dst_sel:DWORD dst_unused:UNUSED_PAD src0_sel:DWORD src1_sel:WORD_1
	v_mul_f16_sdwa v50, v71, v82 dst_sel:DWORD dst_unused:UNUSED_PAD src0_sel:DWORD src1_sel:WORD_1
	;; [unrolled: 1-line block ×3, first 2 shown]
	v_fmac_f16_e32 v52, v29, v36
	v_fma_f16 v29, v74, v37, -v91
	v_mul_f16_sdwa v35, v48, v67 dst_sel:DWORD dst_unused:UNUSED_PAD src0_sel:DWORD src1_sel:WORD_1
	v_fmac_f16_e32 v57, v23, v37
	v_mul_f16_sdwa v37, v46, v85 dst_sel:DWORD dst_unused:UNUSED_PAD src0_sel:DWORD src1_sel:WORD_1
	v_fma_f16 v63, v76, v80, -v92
	v_fmac_f16_e32 v59, v28, v80
	v_fma_f16 v28, v75, v81, -v93
	v_mul_f16_sdwa v45, v70, v39 dst_sel:DWORD dst_unused:UNUSED_PAD src0_sel:DWORD src1_sel:WORD_1
	v_mul_f16_sdwa v96, v17, v40 dst_sel:DWORD dst_unused:UNUSED_PAD src0_sel:DWORD src1_sel:WORD_1
	;; [unrolled: 1-line block ×6, first 2 shown]
	v_fmac_f16_e32 v53, v33, v34
	v_mul_f16_sdwa v79, v1, v65 dst_sel:DWORD dst_unused:UNUSED_PAD src0_sel:DWORD src1_sel:WORD_1
	v_mul_f16_sdwa v33, v47, v65 dst_sel:DWORD dst_unused:UNUSED_PAD src0_sel:DWORD src1_sel:WORD_1
	;; [unrolled: 1-line block ×4, first 2 shown]
	v_fmac_f16_e32 v60, v25, v81
	v_fma_f16 v23, v72, v38, -v94
	v_fmac_f16_e32 v44, v22, v38
	v_fma_f16 v22, v70, v39, -v95
	;; [unrolled: 2-line block ×4, first 2 shown]
	v_fmac_f16_e32 v35, v2, v67
	v_fmac_f16_e32 v37, v20, v85
	v_add_f16_e32 v2, v61, v28
	v_add_f16_e32 v20, v62, v63
	v_mul_f16_sdwa v100, v42, v64 dst_sel:DWORD dst_unused:UNUSED_PAD src0_sel:DWORD src1_sel:WORD_1
	v_mul_f16_sdwa v78, v88, v66 dst_sel:DWORD dst_unused:UNUSED_PAD src0_sel:DWORD src1_sel:WORD_1
	;; [unrolled: 1-line block ×3, first 2 shown]
	v_fmac_f16_e32 v45, v19, v39
	v_fma_f16 v19, v68, v40, -v96
	v_fmac_f16_e32 v43, v17, v40
	v_fma_f16 v17, v73, v41, -v97
	v_fmac_f16_e32 v51, v18, v83
	v_fmac_f16_e32 v32, v42, v64
	v_fma_f16 v38, v47, v65, -v79
	v_fmac_f16_e32 v33, v1, v65
	v_fma_f16 v40, v48, v67, -v77
	v_fma_f16 v42, v46, v85, -v91
	v_sub_f16_e32 v18, v53, v60
	v_sub_f16_e32 v25, v56, v59
	v_add_f16_e32 v46, v30, v29
	v_sub_f16_e32 v47, v57, v52
	v_add_f16_e32 v48, v23, v21
	v_add_f16_e32 v65, v22, v24
	;; [unrolled: 1-line block ×3, first 2 shown]
	v_mul_f16_sdwa v74, v90, v84 dst_sel:DWORD dst_unused:UNUSED_PAD src0_sel:DWORD src1_sel:WORD_1
	v_fma_f16 v39, v86, v64, -v100
	v_fma_f16 v1, v87, v66, -v78
	v_fmac_f16_e32 v34, v88, v66
	v_sub_f16_e32 v64, v44, v51
	v_sub_f16_e32 v66, v45, v50
	v_add_f16_e32 v67, v19, v17
	v_sub_f16_e32 v68, v49, v43
	v_sub_f16_e32 v70, v20, v2
	;; [unrolled: 1-line block ×4, first 2 shown]
	v_add_f16_e32 v71, v47, v25
	v_sub_f16_e32 v72, v47, v25
	v_sub_f16_e32 v25, v25, v18
	v_add_f16_e32 v73, v65, v48
	v_add_f16_e32 v46, v46, v69
	v_fma_f16 v41, v89, v84, -v74
	v_sub_f16_e32 v47, v18, v47
	v_sub_f16_e32 v74, v65, v48
	;; [unrolled: 1-line block ×4, first 2 shown]
	v_add_f16_e32 v75, v68, v66
	v_sub_f16_e32 v76, v68, v66
	v_sub_f16_e32 v66, v66, v64
	v_add_f16_e32 v18, v71, v18
	v_mul_f16_e32 v2, 0x3a52, v2
	v_mul_f16_e32 v69, 0x2b26, v20
	;; [unrolled: 1-line block ×4, first 2 shown]
	v_add_f16_e32 v67, v67, v73
	v_add_f16_e32 v54, v54, v46
	v_sub_f16_e32 v68, v64, v68
	v_add_f16_e32 v64, v75, v64
	v_mul_f16_e32 v48, 0x3a52, v48
	v_mul_f16_e32 v73, 0x2b26, v65
	;; [unrolled: 1-line block ×4, first 2 shown]
	v_fmamk_f16 v20, v20, 0x2b26, v2
	v_fma_f16 v69, v70, 0x39e0, -v69
	v_fma_f16 v2, v70, 0xb9e0, -v2
	v_fmamk_f16 v70, v47, 0x3574, v71
	v_fma_f16 v25, v25, 0x3b00, -v71
	v_fma_f16 v47, v47, 0xb574, -v72
	v_add_f16_e32 v55, v55, v67
	v_fmamk_f16 v46, v46, 0xbcab, v54
	v_mul_f16_sdwa v36, v89, v84 dst_sel:DWORD dst_unused:UNUSED_PAD src0_sel:DWORD src1_sel:WORD_1
	v_fmamk_f16 v65, v65, 0x2b26, v48
	v_fma_f16 v71, v74, 0x39e0, -v73
	v_fma_f16 v48, v74, 0xb9e0, -v48
	v_fmamk_f16 v72, v68, 0x3574, v75
	v_fma_f16 v66, v66, 0x3b00, -v75
	v_fma_f16 v68, v68, 0xb574, -v76
	v_fmac_f16_e32 v70, 0x370e, v18
	v_fmac_f16_e32 v25, 0x370e, v18
	;; [unrolled: 1-line block ×3, first 2 shown]
	v_fmamk_f16 v18, v67, 0xbcab, v55
	v_add_f16_e32 v20, v20, v46
	v_add_f16_e32 v2, v2, v46
	ds_write_b16 v31, v54
	v_add_f16_e32 v54, v69, v46
	v_fmac_f16_e32 v36, v90, v84
	v_fmac_f16_e32 v72, 0x370e, v64
	;; [unrolled: 1-line block ×4, first 2 shown]
	v_add_f16_e32 v46, v65, v18
	v_add_f16_e32 v64, v71, v18
	;; [unrolled: 1-line block ×5, first 2 shown]
	v_sub_f16_e32 v67, v54, v25
	v_add_f16_e32 v25, v25, v54
	v_sub_f16_e32 v2, v2, v47
	v_sub_f16_e32 v20, v20, v70
	v_add_f16_e32 v47, v72, v46
	v_add_f16_e32 v54, v68, v18
	v_sub_f16_e32 v69, v64, v66
	v_add_f16_e32 v64, v66, v64
	v_sub_f16_e32 v18, v18, v68
	v_sub_f16_e32 v46, v46, v72
	ds_write_b16 v31, v48 offset:26
	ds_write_b16 v31, v65 offset:52
	;; [unrolled: 1-line block ×6, first 2 shown]
	ds_write_b16 v26, v55
	ds_write_b16 v26, v47 offset:26
	ds_write_b16 v26, v54 offset:52
	;; [unrolled: 1-line block ×6, first 2 shown]
	s_and_saveexec_b32 s1, s0
	s_cbranch_execz .LBB0_25
; %bb.24:
	v_add_f16_e32 v2, v39, v42
	v_add_f16_e32 v18, v38, v41
	;; [unrolled: 1-line block ×3, first 2 shown]
	v_sub_f16_e32 v46, v35, v34
	v_sub_f16_e32 v48, v33, v36
	;; [unrolled: 1-line block ×3, first 2 shown]
	v_add_f16_e32 v47, v18, v2
	v_sub_f16_e32 v54, v2, v20
	v_sub_f16_e32 v55, v20, v18
	;; [unrolled: 1-line block ×4, first 2 shown]
	v_add_f16_e32 v20, v20, v47
	v_sub_f16_e32 v47, v46, v48
	v_add_f16_e32 v46, v46, v48
	v_sub_f16_e32 v48, v48, v25
	v_mul_f16_e32 v18, 0x3a52, v54
	v_add_f16_e32 v27, v27, v20
	v_mul_f16_e32 v47, 0xb846, v47
	v_add_f16_e32 v25, v46, v25
	v_mul_f16_e32 v54, 0x3b00, v48
	v_fmamk_f16 v46, v55, 0x2b26, v18
	v_mul_f16_e32 v55, 0x2b26, v55
	v_fmamk_f16 v20, v20, 0xbcab, v27
	v_fmamk_f16 v65, v64, 0x3574, v47
	v_fma_f16 v18, v2, 0xb9e0, -v18
	v_fma_f16 v54, v64, 0xb574, -v54
	;; [unrolled: 1-line block ×4, first 2 shown]
	v_lshlrev_b32_sdwa v48, v58, v15 dst_sel:DWORD dst_unused:UNUSED_PAD src0_sel:DWORD src1_sel:WORD_0
	v_add_f16_e32 v46, v46, v20
	v_fmac_f16_e32 v65, 0x370e, v25
	v_add_f16_e32 v18, v18, v20
	v_fmac_f16_e32 v54, 0x370e, v25
	v_fmac_f16_e32 v47, 0x370e, v25
	v_add_f16_e32 v2, v2, v20
	v_add3_u32 v25, 0, v48, v9
	v_sub_f16_e32 v55, v46, v65
	v_add_f16_e32 v46, v65, v46
	v_sub_f16_e32 v20, v18, v54
	v_add_f16_e32 v18, v54, v18
	;; [unrolled: 2-line block ×3, first 2 shown]
	ds_write_b16 v25, v27 offset:2548
	ds_write_b16 v25, v46 offset:2574
	;; [unrolled: 1-line block ×7, first 2 shown]
.LBB0_25:
	s_or_b32 exec_lo, exec_lo, s1
	v_add_f16_e32 v2, v53, v60
	v_add_f16_e32 v18, v56, v59
	v_sub_f16_e32 v20, v61, v28
	v_add_f16_e32 v25, v52, v57
	v_sub_f16_e32 v27, v62, v63
	v_sub_f16_e32 v28, v29, v30
	v_add_f16_e32 v29, v18, v2
	v_sub_f16_e32 v30, v18, v2
	v_sub_f16_e32 v2, v2, v25
	;; [unrolled: 1-line block ×3, first 2 shown]
	v_add_f16_e32 v46, v28, v27
	v_add_f16_e32 v25, v25, v29
	v_sub_f16_e32 v29, v28, v27
	v_sub_f16_e32 v28, v20, v28
	;; [unrolled: 1-line block ×3, first 2 shown]
	v_add_f16_e32 v20, v46, v20
	v_add_f16_e32 v46, v16, v25
	v_mul_f16_e32 v16, 0x2b26, v18
	v_mul_f16_e32 v29, 0xb846, v29
	;; [unrolled: 1-line block ×4, first 2 shown]
	v_fmamk_f16 v25, v25, 0xbcab, v46
	v_fma_f16 v16, v30, 0x39e0, -v16
	v_fma_f16 v27, v27, 0x3b00, -v29
	v_fmamk_f16 v18, v18, 0x2b26, v2
	v_fma_f16 v2, v30, 0xb9e0, -v2
	v_fmamk_f16 v30, v28, 0x3574, v29
	v_fma_f16 v28, v28, 0xb574, -v47
	v_add_f16_e32 v16, v16, v25
	v_fmac_f16_e32 v27, 0x370e, v20
	v_sub_f16_e32 v21, v23, v21
	v_fmac_f16_e32 v30, 0x370e, v20
	v_fmac_f16_e32 v28, 0x370e, v20
	v_add_f16_e32 v20, v45, v50
	v_add_f16_e32 v52, v27, v16
	v_sub_f16_e32 v53, v16, v27
	v_add_f16_e32 v16, v44, v51
	v_add_f16_e32 v23, v43, v49
	v_sub_f16_e32 v22, v22, v24
	v_sub_f16_e32 v17, v17, v19
	v_add_f16_e32 v18, v18, v25
	v_add_f16_e32 v19, v20, v16
	v_sub_f16_e32 v24, v20, v16
	v_sub_f16_e32 v16, v16, v23
	;; [unrolled: 1-line block ×3, first 2 shown]
	v_add_f16_e32 v2, v2, v25
	v_add_f16_e32 v19, v23, v19
	v_sub_f16_e32 v23, v17, v22
	v_add_f16_e32 v25, v17, v22
	v_sub_f16_e32 v22, v22, v21
	v_sub_f16_e32 v17, v21, v17
	v_add_f16_e32 v43, v14, v19
	v_mul_f16_e32 v14, 0x3a52, v16
	v_mul_f16_e32 v16, 0x2b26, v20
	;; [unrolled: 1-line block ×3, first 2 shown]
	v_add_f16_e32 v21, v25, v21
	v_mul_f16_e32 v25, 0x3b00, v22
	v_fmamk_f16 v19, v19, 0xbcab, v43
	v_fma_f16 v16, v24, 0x39e0, -v16
	v_fma_f16 v22, v22, 0x3b00, -v23
	v_fmamk_f16 v20, v20, 0x2b26, v14
	v_fma_f16 v14, v24, 0xb9e0, -v14
	v_fmamk_f16 v44, v17, 0x3574, v23
	v_fma_f16 v45, v17, 0xb574, -v25
	v_add_f16_e32 v16, v16, v19
	v_fmac_f16_e32 v22, 0x370e, v21
	v_sub_f16_e32 v48, v2, v28
	v_add_f16_e32 v51, v28, v2
	v_add3_u32 v2, 0, v8, v9
	v_sub_f16_e32 v47, v18, v30
	v_add_f16_e32 v49, v20, v19
	v_add_f16_e32 v50, v14, v19
	v_fmac_f16_e32 v44, 0x370e, v21
	v_fmac_f16_e32 v45, 0x370e, v21
	v_add_f16_e32 v54, v30, v18
	v_add_f16_e32 v57, v22, v16
	v_sub_f16_e32 v58, v16, v22
	s_waitcnt lgkmcnt(0)
	s_barrier
	buffer_gl0_inv
	ds_read_u16 v16, v11
	ds_read_u16 v17, v12 offset:182
	ds_read_u16 v24, v2 offset:728
	;; [unrolled: 1-line block ×14, first 2 shown]
	v_sub_f16_e32 v55, v49, v44
	v_sub_f16_e32 v56, v50, v45
	v_add_f16_e32 v45, v45, v50
	v_add_f16_e32 v44, v44, v49
	s_waitcnt lgkmcnt(0)
	s_barrier
	buffer_gl0_inv
	ds_write_b16 v31, v46
	ds_write_b16 v31, v47 offset:26
	ds_write_b16 v31, v48 offset:52
	;; [unrolled: 1-line block ×6, first 2 shown]
	ds_write_b16 v26, v43
	ds_write_b16 v26, v55 offset:26
	ds_write_b16 v26, v56 offset:52
	;; [unrolled: 1-line block ×6, first 2 shown]
	s_and_saveexec_b32 s1, s0
	s_cbranch_execz .LBB0_27
; %bb.26:
	v_add_f16_e32 v26, v32, v37
	v_add_f16_e32 v31, v33, v36
	;; [unrolled: 1-line block ×3, first 2 shown]
	v_sub_f16_e32 v34, v38, v41
	v_sub_f16_e32 v1, v40, v1
	;; [unrolled: 1-line block ×3, first 2 shown]
	v_add_f16_e32 v35, v31, v26
	v_sub_f16_e32 v36, v31, v26
	v_sub_f16_e32 v26, v26, v33
	;; [unrolled: 1-line block ×3, first 2 shown]
	v_add_f16_e32 v37, v1, v34
	v_add_f16_e32 v33, v33, v35
	v_sub_f16_e32 v35, v1, v34
	v_sub_f16_e32 v34, v34, v32
	;; [unrolled: 1-line block ×3, first 2 shown]
	v_add_f16_e32 v32, v37, v32
	v_mul_f16_e32 v26, 0x3a52, v26
	v_mul_f16_e32 v37, 0x2b26, v31
	;; [unrolled: 1-line block ×3, first 2 shown]
	v_add_f16_e32 v0, v0, v33
	v_mul_f16_e32 v38, 0x3b00, v34
	v_fmamk_f16 v31, v31, 0x2b26, v26
	v_fma_f16 v37, v36, 0x39e0, -v37
	v_fma_f16 v26, v36, 0xb9e0, -v26
	v_fmamk_f16 v36, v1, 0x3574, v35
	v_fma_f16 v34, v34, 0x3b00, -v35
	v_mov_b32_e32 v35, 1
	v_fmamk_f16 v33, v33, 0xbcab, v0
	v_fma_f16 v1, v1, 0xb574, -v38
	v_fmac_f16_e32 v36, 0x370e, v32
	v_fmac_f16_e32 v34, 0x370e, v32
	v_lshlrev_b32_sdwa v15, v35, v15 dst_sel:DWORD dst_unused:UNUSED_PAD src0_sel:DWORD src1_sel:WORD_0
	v_add_f16_e32 v31, v31, v33
	v_add_f16_e32 v26, v26, v33
	v_fmac_f16_e32 v1, 0x370e, v32
	v_add_f16_e32 v37, v37, v33
	v_add3_u32 v15, 0, v15, v9
	v_sub_f16_e32 v32, v31, v36
	v_sub_f16_e32 v33, v26, v1
	v_add_f16_e32 v35, v34, v37
	v_sub_f16_e32 v34, v37, v34
	v_add_f16_e32 v1, v1, v26
	v_add_f16_e32 v26, v36, v31
	ds_write_b16 v15, v0 offset:2548
	ds_write_b16 v15, v32 offset:2574
	;; [unrolled: 1-line block ×7, first 2 shown]
.LBB0_27:
	s_or_b32 exec_lo, exec_lo, s1
	v_lshlrev_b32_e32 v0, 2, v10
	v_mov_b32_e32 v1, 0
	s_waitcnt lgkmcnt(0)
	s_barrier
	buffer_gl0_inv
	v_mov_b32_e32 v47, 1
	v_lshlrev_b64 v[31:32], 2, v[0:1]
	v_mov_b32_e32 v0, 0x6817
	v_mul_u32_u24_sdwa v0, v3, v0 dst_sel:DWORD dst_unused:UNUSED_PAD src0_sel:WORD_0 src1_sel:DWORD
	v_add_co_u32 v31, s0, s12, v31
	v_add_co_ci_u32_e64 v32, s0, s13, v32, s0
	v_lshrrev_b32_e32 v0, 16, v0
	global_load_dwordx4 v[31:34], v[31:32], off offset:312
	v_sub_nc_u16 v15, v3, v0
	v_lshrrev_b16 v15, 1, v15
	v_add_nc_u16 v0, v15, v0
	v_mov_b32_e32 v15, 4
	v_lshrrev_b16 v0, 6, v0
	v_mul_lo_u16 v0, 0x5b, v0
	v_sub_nc_u16 v39, v3, v0
	v_lshlrev_b32_sdwa v0, v15, v39 dst_sel:DWORD dst_unused:UNUSED_PAD src0_sel:DWORD src1_sel:WORD_0
	v_lshlrev_b32_sdwa v39, v47, v39 dst_sel:DWORD dst_unused:UNUSED_PAD src0_sel:DWORD src1_sel:WORD_0
	global_load_dwordx4 v[35:38], v0, s[12:13] offset:312
	ds_read_u16 v15, v2 offset:546
	ds_read_u16 v40, v2 offset:1092
	;; [unrolled: 1-line block ×4, first 2 shown]
	ds_read_u16 v26, v11
	ds_read_u16 v0, v12 offset:182
	ds_read_u16 v43, v2 offset:728
	;; [unrolled: 1-line block ×9, first 2 shown]
	v_add3_u32 v9, 0, v39, v9
	ds_read_u16 v47, v2 offset:1456
	s_waitcnt vmcnt(0) lgkmcnt(0)
	s_barrier
	buffer_gl0_inv
	v_mul_f16_sdwa v39, v15, v31 dst_sel:DWORD dst_unused:UNUSED_PAD src0_sel:DWORD src1_sel:WORD_1
	v_mul_f16_sdwa v52, v28, v31 dst_sel:DWORD dst_unused:UNUSED_PAD src0_sel:DWORD src1_sel:WORD_1
	v_mul_f16_sdwa v53, v40, v32 dst_sel:DWORD dst_unused:UNUSED_PAD src0_sel:DWORD src1_sel:WORD_1
	v_mul_f16_sdwa v55, v41, v33 dst_sel:DWORD dst_unused:UNUSED_PAD src0_sel:DWORD src1_sel:WORD_1
	v_mul_f16_sdwa v57, v42, v34 dst_sel:DWORD dst_unused:UNUSED_PAD src0_sel:DWORD src1_sel:WORD_1
	v_mul_f16_sdwa v59, v43, v31 dst_sel:DWORD dst_unused:UNUSED_PAD src0_sel:DWORD src1_sel:WORD_1
	v_mul_f16_sdwa v61, v44, v32 dst_sel:DWORD dst_unused:UNUSED_PAD src0_sel:DWORD src1_sel:WORD_1
	v_mul_f16_sdwa v63, v45, v33 dst_sel:DWORD dst_unused:UNUSED_PAD src0_sel:DWORD src1_sel:WORD_1
	v_mul_f16_sdwa v65, v49, v34 dst_sel:DWORD dst_unused:UNUSED_PAD src0_sel:DWORD src1_sel:WORD_1
	v_mul_f16_sdwa v54, v27, v32 dst_sel:DWORD dst_unused:UNUSED_PAD src0_sel:DWORD src1_sel:WORD_1
	v_mul_f16_sdwa v56, v30, v33 dst_sel:DWORD dst_unused:UNUSED_PAD src0_sel:DWORD src1_sel:WORD_1
	v_mul_f16_sdwa v58, v29, v34 dst_sel:DWORD dst_unused:UNUSED_PAD src0_sel:DWORD src1_sel:WORD_1
	v_mul_f16_sdwa v60, v24, v31 dst_sel:DWORD dst_unused:UNUSED_PAD src0_sel:DWORD src1_sel:WORD_1
	v_mul_f16_sdwa v62, v23, v32 dst_sel:DWORD dst_unused:UNUSED_PAD src0_sel:DWORD src1_sel:WORD_1
	v_mul_f16_sdwa v64, v22, v33 dst_sel:DWORD dst_unused:UNUSED_PAD src0_sel:DWORD src1_sel:WORD_1
	v_mul_f16_sdwa v66, v25, v34 dst_sel:DWORD dst_unused:UNUSED_PAD src0_sel:DWORD src1_sel:WORD_1
	v_fma_f16 v28, v28, v31, -v39
	v_fmac_f16_e32 v52, v15, v31
	v_fma_f16 v15, v27, v32, -v53
	v_fma_f16 v27, v30, v33, -v55
	v_fma_f16 v29, v29, v34, -v57
	v_fma_f16 v24, v24, v31, -v59
	v_fma_f16 v23, v23, v32, -v61
	v_fma_f16 v22, v22, v33, -v63
	v_fma_f16 v25, v25, v34, -v65
	v_fmac_f16_e32 v54, v40, v32
	v_fmac_f16_e32 v56, v41, v33
	;; [unrolled: 1-line block ×7, first 2 shown]
	v_add_f16_e32 v30, v16, v28
	v_add_f16_e32 v31, v15, v27
	;; [unrolled: 1-line block ×4, first 2 shown]
	v_sub_f16_e32 v34, v28, v15
	v_sub_f16_e32 v39, v29, v27
	v_add_f16_e32 v43, v26, v52
	v_add_f16_e32 v61, v23, v22
	;; [unrolled: 1-line block ×3, first 2 shown]
	v_sub_f16_e32 v32, v52, v58
	v_sub_f16_e32 v41, v15, v28
	;; [unrolled: 1-line block ×3, first 2 shown]
	v_add_f16_e32 v44, v54, v56
	v_sub_f16_e32 v45, v15, v27
	v_sub_f16_e32 v49, v52, v54
	;; [unrolled: 1-line block ×3, first 2 shown]
	v_add_f16_e32 v55, v52, v58
	v_add_f16_e32 v73, v62, v64
	v_add_f16_e32 v77, v60, v66
	v_add_f16_e32 v15, v30, v15
	v_fma_f16 v30, -0.5, v31, v16
	v_sub_f16_e32 v33, v54, v56
	v_sub_f16_e32 v52, v54, v52
	;; [unrolled: 1-line block ×6, first 2 shown]
	v_fmac_f16_e32 v16, -0.5, v40
	v_add_f16_e32 v23, v59, v23
	v_sub_f16_e32 v63, v60, v66
	v_sub_f16_e32 v65, v62, v64
	v_add_f16_e32 v72, v0, v60
	v_sub_f16_e32 v75, v60, v62
	v_sub_f16_e32 v60, v62, v60
	;; [unrolled: 1-line block ×3, first 2 shown]
	v_add_f16_e32 v31, v34, v39
	v_add_f16_e32 v39, v43, v54
	v_fma_f16 v43, -0.5, v61, v17
	v_fmac_f16_e32 v17, -0.5, v69
	v_add_f16_e32 v34, v41, v42
	v_fma_f16 v40, -0.5, v44, v26
	v_add_f16_e32 v41, v49, v53
	v_fmac_f16_e32 v26, -0.5, v55
	v_fma_f16 v53, -0.5, v73, v0
	v_fmac_f16_e32 v0, -0.5, v77
	v_add_f16_e32 v15, v15, v27
	v_fmamk_f16 v27, v32, 0x3b9c, v30
	v_sub_f16_e32 v68, v25, v22
	v_sub_f16_e32 v71, v22, v25
	v_add_f16_e32 v42, v52, v57
	v_fmac_f16_e32 v30, 0xbb9c, v32
	v_fmamk_f16 v57, v33, 0xbb9c, v16
	v_add_f16_e32 v22, v23, v22
	v_fmac_f16_e32 v16, 0x3b9c, v33
	v_add_f16_e32 v55, v60, v78
	v_fmamk_f16 v23, v63, 0x3b9c, v43
	v_fmamk_f16 v60, v65, 0xbb9c, v17
	v_fmac_f16_e32 v17, 0x3b9c, v65
	v_sub_f16_e32 v28, v28, v29
	v_sub_f16_e32 v24, v24, v25
	v_add_f16_e32 v52, v72, v62
	v_fmamk_f16 v59, v45, 0x3b9c, v26
	v_fmac_f16_e32 v26, 0xbb9c, v45
	v_fmac_f16_e32 v43, 0xbb9c, v63
	v_fmamk_f16 v62, v74, 0x3b9c, v0
	v_fmac_f16_e32 v0, 0xbb9c, v74
	v_add_f16_e32 v15, v15, v29
	v_fmac_f16_e32 v27, 0x38b4, v33
	v_fmac_f16_e32 v30, 0xb8b4, v33
	;; [unrolled: 1-line block ×3, first 2 shown]
	v_add_f16_e32 v22, v22, v25
	v_fmac_f16_e32 v16, 0xb8b4, v32
	v_add_f16_e32 v44, v67, v68
	v_add_f16_e32 v49, v70, v71
	v_fmac_f16_e32 v23, 0x38b4, v65
	v_fmac_f16_e32 v17, 0xb8b4, v63
	v_add_f16_e32 v39, v39, v56
	v_fmamk_f16 v56, v28, 0xbb9c, v40
	v_fmac_f16_e32 v40, 0x3b9c, v28
	v_fmamk_f16 v61, v24, 0xbb9c, v53
	v_fmac_f16_e32 v53, 0x3b9c, v24
	v_fmac_f16_e32 v59, 0xb8b4, v28
	;; [unrolled: 1-line block ×8, first 2 shown]
	ds_write_b16 v2, v15
	ds_write_b16 v2, v22 offset:910
	v_mul_f16_sdwa v15, v46, v35 dst_sel:DWORD dst_unused:UNUSED_PAD src0_sel:DWORD src1_sel:WORD_1
	v_mul_f16_sdwa v24, v47, v36 dst_sel:DWORD dst_unused:UNUSED_PAD src0_sel:DWORD src1_sel:WORD_1
	;; [unrolled: 1-line block ×3, first 2 shown]
	v_fmac_f16_e32 v30, 0x34f2, v31
	v_fmac_f16_e32 v57, 0x34f2, v34
	v_mul_f16_sdwa v31, v50, v38 dst_sel:DWORD dst_unused:UNUSED_PAD src0_sel:DWORD src1_sel:WORD_1
	v_fmac_f16_e32 v16, 0x34f2, v34
	v_fmac_f16_e32 v23, 0x34f2, v44
	;; [unrolled: 1-line block ×3, first 2 shown]
	v_mul_f16_sdwa v22, v19, v35 dst_sel:DWORD dst_unused:UNUSED_PAD src0_sel:DWORD src1_sel:WORD_1
	v_mul_f16_sdwa v25, v21, v36 dst_sel:DWORD dst_unused:UNUSED_PAD src0_sel:DWORD src1_sel:WORD_1
	;; [unrolled: 1-line block ×4, first 2 shown]
	v_fmac_f16_e32 v43, 0x34f2, v44
	v_fmac_f16_e32 v60, 0x34f2, v49
	ds_write_b16 v2, v27 offset:182
	ds_write_b16 v2, v57 offset:364
	;; [unrolled: 1-line block ×8, first 2 shown]
	v_fma_f16 v15, v19, v35, -v15
	v_fma_f16 v16, v21, v36, -v24
	;; [unrolled: 1-line block ×4, first 2 shown]
	v_fmac_f16_e32 v56, 0xb8b4, v45
	v_fmac_f16_e32 v40, 0x38b4, v45
	;; [unrolled: 1-line block ×6, first 2 shown]
	v_add_f16_e32 v19, v14, v15
	v_add_f16_e32 v20, v16, v17
	;; [unrolled: 1-line block ×3, first 2 shown]
	v_fmac_f16_e32 v56, 0x34f2, v41
	v_fmac_f16_e32 v40, 0x34f2, v41
	v_sub_f16_e32 v24, v15, v16
	v_sub_f16_e32 v27, v18, v17
	;; [unrolled: 1-line block ×4, first 2 shown]
	v_add_f16_e32 v36, v25, v29
	v_add_f16_e32 v41, v22, v34
	v_sub_f16_e32 v21, v22, v34
	v_sub_f16_e32 v37, v16, v17
	v_add_f16_e32 v16, v19, v16
	v_fma_f16 v19, -0.5, v20, v14
	v_sub_f16_e32 v23, v25, v29
	v_fmac_f16_e32 v14, -0.5, v28
	v_add_f16_e32 v35, v48, v22
	v_sub_f16_e32 v15, v15, v18
	v_add_f16_e32 v20, v24, v27
	v_add_f16_e32 v24, v30, v31
	v_fma_f16 v30, -0.5, v36, v48
	v_fmac_f16_e32 v48, -0.5, v41
	v_add_f16_e32 v16, v16, v17
	v_fmamk_f16 v17, v21, 0x3b9c, v19
	v_fmamk_f16 v28, v23, 0xbb9c, v14
	v_fmac_f16_e32 v14, 0x3b9c, v23
	v_fmac_f16_e32 v19, 0xbb9c, v21
	v_add_f16_e32 v32, v39, v58
	v_fmac_f16_e32 v59, 0x34f2, v42
	v_fmac_f16_e32 v26, 0x34f2, v42
	v_sub_f16_e32 v38, v22, v25
	v_sub_f16_e32 v39, v34, v29
	;; [unrolled: 1-line block ×4, first 2 shown]
	v_add_f16_e32 v25, v35, v25
	v_fmamk_f16 v31, v15, 0xbb9c, v30
	v_fmac_f16_e32 v30, 0x3b9c, v15
	v_fmamk_f16 v35, v37, 0x3b9c, v48
	v_fmac_f16_e32 v48, 0xbb9c, v37
	v_fmac_f16_e32 v17, 0x38b4, v23
	;; [unrolled: 1-line block ×5, first 2 shown]
	v_add_f16_e32 v27, v38, v39
	v_add_f16_e32 v22, v22, v42
	;; [unrolled: 1-line block ×4, first 2 shown]
	v_fmac_f16_e32 v31, 0xb8b4, v37
	v_fmac_f16_e32 v30, 0x38b4, v37
	;; [unrolled: 1-line block ×8, first 2 shown]
	v_add_f16_e32 v34, v25, v34
	v_fmac_f16_e32 v31, 0x34f2, v27
	v_fmac_f16_e32 v30, 0x34f2, v27
	v_fmac_f16_e32 v35, 0x34f2, v22
	v_fmac_f16_e32 v48, 0x34f2, v22
	ds_write_b16 v9, v16 offset:1820
	ds_write_b16 v9, v17 offset:2002
	;; [unrolled: 1-line block ×5, first 2 shown]
	s_waitcnt lgkmcnt(0)
	s_barrier
	buffer_gl0_inv
	ds_read_u16 v16, v2 offset:1092
	ds_read_u16 v20, v2 offset:1274
	ds_read_u16 v19, v11
	ds_read_u16 v14, v12 offset:182
	ds_read_u16 v15, v2 offset:364
	;; [unrolled: 1-line block ×12, first 2 shown]
	v_sub_f16_e32 v76, v66, v64
	v_add_f16_e32 v52, v52, v64
	v_fmac_f16_e32 v61, 0xb8b4, v74
	v_fmac_f16_e32 v53, 0x38b4, v74
	;; [unrolled: 1-line block ×3, first 2 shown]
	v_add_f16_e32 v54, v75, v76
	v_add_f16_e32 v33, v52, v66
	v_fmac_f16_e32 v0, 0x34f2, v55
	s_waitcnt lgkmcnt(0)
	s_barrier
	v_fmac_f16_e32 v61, 0x34f2, v54
	v_fmac_f16_e32 v53, 0x34f2, v54
	buffer_gl0_inv
	ds_write_b16 v2, v32
	ds_write_b16 v2, v56 offset:182
	ds_write_b16 v2, v59 offset:364
	;; [unrolled: 1-line block ×14, first 2 shown]
	s_waitcnt lgkmcnt(0)
	s_barrier
	buffer_gl0_inv
	s_and_saveexec_b32 s0, vcc_lo
	s_cbranch_execz .LBB0_29
; %bb.28:
	v_add_nc_u32_e32 v0, 0x2d8, v8
	v_mov_b32_e32 v9, v1
	v_mul_hi_u32 v38, 0x20120121, v10
	v_add_nc_u32_e32 v39, 0x5b, v10
	v_add_nc_u32_e32 v40, 0xb6, v10
	v_lshlrev_b64 v[30:31], 2, v[0:1]
	v_add_nc_u32_e32 v0, 0x222, v8
	v_lshlrev_b64 v[8:9], 2, v[8:9]
	v_add_nc_u32_e32 v41, 0x111, v10
	v_add_nc_u32_e32 v42, 0x16c, v10
	v_mul_hi_u32 v43, 0x20120121, v39
	v_add_co_u32 v30, vcc_lo, s12, v30
	v_lshlrev_b64 v[32:33], 2, v[0:1]
	v_lshlrev_b32_e32 v0, 1, v3
	v_add_co_ci_u32_e32 v31, vcc_lo, s13, v31, vcc_lo
	v_add_co_u32 v8, vcc_lo, s12, v8
	v_add_co_ci_u32_e32 v9, vcc_lo, s13, v9, vcc_lo
	v_lshlrev_b64 v[34:35], 2, v[0:1]
	v_lshlrev_b32_e32 v0, 1, v13
	v_add_co_u32 v32, vcc_lo, s12, v32
	v_add_co_ci_u32_e32 v33, vcc_lo, s13, v33, vcc_lo
	s_clause 0x1
	global_load_dwordx2 v[30:31], v[30:31], off offset:1768
	global_load_dwordx2 v[8:9], v[8:9], off offset:1768
	v_lshlrev_b64 v[36:37], 2, v[0:1]
	v_add_co_u32 v34, vcc_lo, s12, v34
	global_load_dwordx2 v[32:33], v[32:33], off offset:1768
	v_add_co_ci_u32_e32 v35, vcc_lo, s13, v35, vcc_lo
	v_add_co_u32 v36, vcc_lo, s12, v36
	v_add_co_ci_u32_e32 v37, vcc_lo, s13, v37, vcc_lo
	global_load_dwordx2 v[34:35], v[34:35], off offset:1768
	v_mul_lo_u32 v0, s3, v6
	v_mul_lo_u32 v13, s2, v7
	global_load_dwordx2 v[36:37], v[36:37], off offset:1768
	v_mad_u64_u32 v[6:7], null, s2, v6, 0
	v_sub_nc_u32_e32 v46, v10, v38
	v_mul_hi_u32 v44, 0x20120121, v40
	v_mul_hi_u32 v45, 0x20120121, v41
	ds_read_u16 v26, v2 offset:2548
	ds_read_u16 v56, v2 offset:2366
	;; [unrolled: 1-line block ×14, first 2 shown]
	ds_read_u16 v69, v11
	v_lshlrev_b64 v[2:3], 2, v[4:5]
	v_mov_b32_e32 v4, v1
	v_add3_u32 v7, v7, v13, v0
	v_mul_hi_u32 v0, 0x20120121, v42
	v_lshrrev_b32_e32 v13, 1, v46
	v_sub_nc_u32_e32 v46, v39, v43
	v_sub_nc_u32_e32 v47, v40, v44
	v_lshlrev_b64 v[6:7], 2, v[6:7]
	v_sub_nc_u32_e32 v48, v41, v45
	v_add_nc_u32_e32 v13, v13, v38
	v_lshrrev_b32_e32 v38, 1, v46
	v_sub_nc_u32_e32 v49, v42, v0
	v_lshrrev_b32_e32 v46, 1, v47
	v_lshrrev_b32_e32 v47, 1, v48
	v_add_co_u32 v6, vcc_lo, s10, v6
	v_lshrrev_b32_e32 v48, 1, v49
	v_add_nc_u32_e32 v38, v38, v43
	v_add_co_ci_u32_e32 v7, vcc_lo, s11, v7, vcc_lo
	v_lshrrev_b32_e32 v13, 8, v13
	v_add_nc_u32_e32 v0, v48, v0
	v_add_co_u32 v70, vcc_lo, v6, v2
	v_lshrrev_b32_e32 v2, 8, v38
	v_add_nc_u32_e32 v43, v46, v44
	v_add_co_ci_u32_e32 v71, vcc_lo, v7, v3, vcc_lo
	v_mul_u32_u24_e32 v3, 0x1c7, v13
	v_lshrrev_b32_e32 v54, 8, v0
	v_mul_u32_u24_e32 v0, 0x1c7, v2
	v_add_nc_u32_e32 v44, v47, v45
	v_lshrrev_b32_e32 v13, 8, v43
	v_sub_nc_u32_e32 v3, v10, v3
	v_mul_u32_u24_e32 v10, 0x1c7, v54
	v_sub_nc_u32_e32 v0, v39, v0
	v_lshrrev_b32_e32 v48, 8, v44
	v_mul_u32_u24_e32 v6, 0x1c7, v13
	v_lshlrev_b32_e32 v3, 2, v3
	v_sub_nc_u32_e32 v55, v42, v10
	v_mad_u32_u24 v0, 0x555, v2, v0
	v_mul_u32_u24_e32 v7, 0x1c7, v48
	v_sub_nc_u32_e32 v44, v40, v6
	v_add_co_u32 v6, vcc_lo, v70, v3
	v_lshlrev_b64 v[38:39], 2, v[0:1]
	v_add_nc_u32_e32 v3, 0x1c7, v0
	v_add_nc_u32_e32 v0, 0x38e, v0
	v_sub_nc_u32_e32 v49, v41, v7
	v_add_co_ci_u32_e32 v7, vcc_lo, 0, v71, vcc_lo
	v_add_co_u32 v40, vcc_lo, 0x800, v6
	v_lshlrev_b64 v[42:43], 2, v[0:1]
	v_mad_u32_u24 v0, 0x555, v13, v44
	v_lshlrev_b64 v[2:3], 2, v[3:4]
	v_add_co_ci_u32_e32 v41, vcc_lo, 0, v7, vcc_lo
	v_add_co_u32 v38, vcc_lo, v70, v38
	v_lshlrev_b64 v[44:45], 2, v[0:1]
	v_add_nc_u32_e32 v4, 0x1c7, v0
	v_add_nc_u32_e32 v0, 0x38e, v0
	v_mov_b32_e32 v5, v1
	v_add_co_ci_u32_e32 v39, vcc_lo, v71, v39, vcc_lo
	v_add_co_u32 v2, vcc_lo, v70, v2
	v_lshlrev_b64 v[46:47], 2, v[0:1]
	v_mad_u32_u24 v0, 0x555, v48, v49
	v_add_co_ci_u32_e32 v3, vcc_lo, v71, v3, vcc_lo
	v_add_co_u32 v42, vcc_lo, v70, v42
	v_lshlrev_b64 v[4:5], 2, v[4:5]
	v_add_co_ci_u32_e32 v43, vcc_lo, v71, v43, vcc_lo
	v_add_co_u32 v44, vcc_lo, v70, v44
	v_lshlrev_b64 v[48:49], 2, v[0:1]
	v_add_nc_u32_e32 v10, 0x1c7, v0
	v_add_nc_u32_e32 v0, 0x38e, v0
	v_mov_b32_e32 v11, v1
	v_add_co_ci_u32_e32 v45, vcc_lo, v71, v45, vcc_lo
	v_add_co_u32 v4, vcc_lo, v70, v4
	v_add_co_ci_u32_e32 v5, vcc_lo, v71, v5, vcc_lo
	v_lshlrev_b64 v[52:53], 2, v[0:1]
	v_mad_u32_u24 v0, 0x555, v54, v55
	v_add_co_u32 v46, vcc_lo, v70, v46
	v_lshlrev_b64 v[50:51], 2, v[10:11]
	v_add_co_ci_u32_e32 v47, vcc_lo, v71, v47, vcc_lo
	v_add_co_u32 v48, vcc_lo, v70, v48
	v_mov_b32_e32 v12, v1
	v_add_nc_u32_e32 v11, 0x1c7, v0
	v_add_co_ci_u32_e32 v49, vcc_lo, v71, v49, vcc_lo
	v_lshlrev_b64 v[54:55], 2, v[0:1]
	v_add_co_u32 v50, vcc_lo, v70, v50
	v_add_nc_u32_e32 v0, 0x38e, v0
	v_add_co_ci_u32_e32 v51, vcc_lo, v71, v51, vcc_lo
	v_add_co_u32 v52, vcc_lo, v70, v52
	v_lshlrev_b64 v[10:11], 2, v[11:12]
	v_add_co_ci_u32_e32 v53, vcc_lo, v71, v53, vcc_lo
	v_lshlrev_b64 v[0:1], 2, v[0:1]
	v_add_co_u32 v12, vcc_lo, v70, v54
	v_add_co_ci_u32_e32 v13, vcc_lo, v71, v55, vcc_lo
	v_add_co_u32 v10, vcc_lo, v70, v10
	v_add_co_ci_u32_e32 v11, vcc_lo, v71, v11, vcc_lo
	;; [unrolled: 2-line block ×3, first 2 shown]
	s_waitcnt vmcnt(4) lgkmcnt(9)
	v_mul_f16_sdwa v54, v60, v30 dst_sel:DWORD dst_unused:UNUSED_PAD src0_sel:DWORD src1_sel:WORD_1
	v_mul_f16_sdwa v55, v26, v31 dst_sel:DWORD dst_unused:UNUSED_PAD src0_sel:DWORD src1_sel:WORD_1
	;; [unrolled: 1-line block ×4, first 2 shown]
	s_waitcnt vmcnt(3) lgkmcnt(5)
	v_mul_f16_sdwa v72, v64, v8 dst_sel:DWORD dst_unused:UNUSED_PAD src0_sel:DWORD src1_sel:WORD_1
	v_mul_f16_sdwa v73, v59, v9 dst_sel:DWORD dst_unused:UNUSED_PAD src0_sel:DWORD src1_sel:WORD_1
	;; [unrolled: 1-line block ×4, first 2 shown]
	v_fma_f16 v29, v29, v30, -v54
	v_fma_f16 v28, v28, v31, -v55
	v_fmac_f16_e32 v70, v30, v60
	v_fmac_f16_e32 v71, v31, v26
	s_waitcnt vmcnt(2)
	v_mul_f16_sdwa v26, v61, v32 dst_sel:DWORD dst_unused:UNUSED_PAD src0_sel:DWORD src1_sel:WORD_1
	v_mul_f16_sdwa v30, v56, v33 dst_sel:DWORD dst_unused:UNUSED_PAD src0_sel:DWORD src1_sel:WORD_1
	;; [unrolled: 1-line block ×4, first 2 shown]
	v_fma_f16 v25, v25, v8, -v72
	v_fma_f16 v27, v27, v9, -v73
	v_fmac_f16_e32 v74, v8, v64
	v_fmac_f16_e32 v75, v9, v59
	v_add_f16_e32 v9, v70, v71
	v_add_f16_e32 v55, v29, v28
	s_waitcnt lgkmcnt(4)
	v_add_f16_e32 v60, v70, v65
	v_fma_f16 v23, v23, v32, -v26
	v_fma_f16 v24, v24, v33, -v30
	v_fmac_f16_e32 v31, v32, v61
	v_fmac_f16_e32 v54, v33, v56
	s_waitcnt vmcnt(1)
	v_mul_f16_sdwa v26, v62, v34 dst_sel:DWORD dst_unused:UNUSED_PAD src0_sel:DWORD src1_sel:WORD_1
	v_mul_f16_sdwa v30, v57, v35 dst_sel:DWORD dst_unused:UNUSED_PAD src0_sel:DWORD src1_sel:WORD_1
	v_mul_f16_sdwa v32, v20, v34 dst_sel:DWORD dst_unused:UNUSED_PAD src0_sel:DWORD src1_sel:WORD_1
	v_mul_f16_sdwa v33, v21, v35 dst_sel:DWORD dst_unused:UNUSED_PAD src0_sel:DWORD src1_sel:WORD_1
	v_sub_f16_e32 v8, v29, v28
	v_add_f16_e32 v29, v22, v29
	v_sub_f16_e32 v59, v70, v71
	v_sub_f16_e32 v56, v25, v27
	v_add_f16_e32 v61, v74, v75
	v_add_f16_e32 v64, v25, v27
	s_waitcnt lgkmcnt(0)
	v_add_f16_e32 v72, v74, v69
	v_add_f16_e32 v25, v19, v25
	v_fma_f16 v9, -0.5, v9, v65
	v_fma_f16 v22, -0.5, v55, v22
	v_add_f16_e32 v55, v71, v60
	v_add_f16_e32 v60, v31, v54
	v_sub_f16_e32 v71, v31, v54
	v_add_f16_e32 v31, v31, v66
	v_fma_f16 v20, v20, v34, -v26
	v_fma_f16 v21, v21, v35, -v30
	v_fmac_f16_e32 v32, v34, v62
	v_fmac_f16_e32 v33, v35, v57
	s_waitcnt vmcnt(0)
	v_mul_f16_sdwa v26, v63, v36 dst_sel:DWORD dst_unused:UNUSED_PAD src0_sel:DWORD src1_sel:WORD_1
	v_mul_f16_sdwa v30, v58, v37 dst_sel:DWORD dst_unused:UNUSED_PAD src0_sel:DWORD src1_sel:WORD_1
	;; [unrolled: 1-line block ×4, first 2 shown]
	v_add_f16_e32 v28, v29, v28
	v_sub_f16_e32 v29, v23, v24
	v_add_f16_e32 v65, v23, v24
	v_add_f16_e32 v23, v18, v23
	v_sub_f16_e32 v70, v74, v75
	v_fma_f16 v57, -0.5, v61, v69
	v_fma_f16 v19, -0.5, v64, v19
	v_add_f16_e32 v61, v75, v72
	v_add_f16_e32 v25, v25, v27
	v_fmamk_f16 v27, v8, 0x3aee, v9
	v_fmac_f16_e32 v9, 0xbaee, v8
	v_fma_f16 v8, -0.5, v60, v66
	v_add_f16_e32 v31, v54, v31
	v_add_f16_e32 v54, v32, v33
	v_sub_f16_e32 v60, v32, v33
	v_add_f16_e32 v32, v32, v67
	v_fma_f16 v16, v16, v36, -v26
	v_fma_f16 v17, v17, v37, -v30
	v_fmac_f16_e32 v34, v36, v63
	v_fmac_f16_e32 v35, v37, v58
	v_fmamk_f16 v62, v59, 0xbaee, v22
	v_fmac_f16_e32 v22, 0x3aee, v59
	v_add_f16_e32 v23, v23, v24
	v_sub_f16_e32 v24, v20, v21
	v_add_f16_e32 v59, v20, v21
	v_add_f16_e32 v20, v15, v20
	v_fmamk_f16 v26, v56, 0x3aee, v57
	v_fmamk_f16 v30, v70, 0xbaee, v19
	v_fmac_f16_e32 v57, 0xbaee, v56
	v_fmac_f16_e32 v19, 0x3aee, v70
	v_pack_b32_f16 v25, v25, v61
	v_fmamk_f16 v36, v29, 0x3aee, v8
	v_fmac_f16_e32 v8, 0xbaee, v29
	v_fma_f16 v29, -0.5, v54, v67
	v_add_f16_e32 v32, v33, v32
	v_add_f16_e32 v33, v34, v35
	;; [unrolled: 1-line block ×3, first 2 shown]
	v_pack_b32_f16 v28, v28, v55
	v_add_f16_e32 v20, v20, v21
	v_sub_f16_e32 v21, v16, v17
	v_sub_f16_e32 v55, v34, v35
	v_add_f16_e32 v34, v34, v68
	v_add_f16_e32 v16, v14, v16
	global_store_dword v[6:7], v25, off
	v_pack_b32_f16 v19, v19, v57
	v_pack_b32_f16 v25, v30, v26
	v_fmamk_f16 v26, v24, 0x3aee, v29
	v_fmac_f16_e32 v29, 0xbaee, v24
	v_fma_f16 v24, -0.5, v33, v68
	v_fma_f16 v14, -0.5, v54, v14
	;; [unrolled: 1-line block ×4, first 2 shown]
	v_add_f16_e32 v30, v35, v34
	v_add_f16_e32 v16, v16, v17
	global_store_dword v[6:7], v19, off offset:1820
	global_store_dword v[40:41], v25, off offset:1592
	v_fmamk_f16 v6, v21, 0x3aee, v24
	v_fmamk_f16 v7, v55, 0xbaee, v14
	v_fmac_f16_e32 v24, 0xbaee, v21
	v_fmac_f16_e32 v14, 0x3aee, v55
	v_pack_b32_f16 v9, v22, v9
	v_pack_b32_f16 v22, v62, v27
	v_fmamk_f16 v27, v60, 0xbaee, v15
	v_fmac_f16_e32 v15, 0x3aee, v60
	v_fmamk_f16 v37, v71, 0xbaee, v18
	v_fmac_f16_e32 v18, 0x3aee, v71
	v_pack_b32_f16 v16, v16, v30
	v_pack_b32_f16 v14, v14, v24
	;; [unrolled: 1-line block ×9, first 2 shown]
	global_store_dword v[38:39], v16, off
	global_store_dword v[2:3], v14, off
	;; [unrolled: 1-line block ×12, first 2 shown]
.LBB0_29:
	s_endpgm
	.section	.rodata,"a",@progbits
	.p2align	6, 0x0
	.amdhsa_kernel fft_rtc_fwd_len1365_factors_13_7_5_3_wgs_182_tpt_91_halfLds_half_op_CI_CI_unitstride_sbrr_dirReg
		.amdhsa_group_segment_fixed_size 0
		.amdhsa_private_segment_fixed_size 0
		.amdhsa_kernarg_size 104
		.amdhsa_user_sgpr_count 6
		.amdhsa_user_sgpr_private_segment_buffer 1
		.amdhsa_user_sgpr_dispatch_ptr 0
		.amdhsa_user_sgpr_queue_ptr 0
		.amdhsa_user_sgpr_kernarg_segment_ptr 1
		.amdhsa_user_sgpr_dispatch_id 0
		.amdhsa_user_sgpr_flat_scratch_init 0
		.amdhsa_user_sgpr_private_segment_size 0
		.amdhsa_wavefront_size32 1
		.amdhsa_uses_dynamic_stack 0
		.amdhsa_system_sgpr_private_segment_wavefront_offset 0
		.amdhsa_system_sgpr_workgroup_id_x 1
		.amdhsa_system_sgpr_workgroup_id_y 0
		.amdhsa_system_sgpr_workgroup_id_z 0
		.amdhsa_system_sgpr_workgroup_info 0
		.amdhsa_system_vgpr_workitem_id 0
		.amdhsa_next_free_vgpr 101
		.amdhsa_next_free_sgpr 27
		.amdhsa_reserve_vcc 1
		.amdhsa_reserve_flat_scratch 0
		.amdhsa_float_round_mode_32 0
		.amdhsa_float_round_mode_16_64 0
		.amdhsa_float_denorm_mode_32 3
		.amdhsa_float_denorm_mode_16_64 3
		.amdhsa_dx10_clamp 1
		.amdhsa_ieee_mode 1
		.amdhsa_fp16_overflow 0
		.amdhsa_workgroup_processor_mode 1
		.amdhsa_memory_ordered 1
		.amdhsa_forward_progress 0
		.amdhsa_shared_vgpr_count 0
		.amdhsa_exception_fp_ieee_invalid_op 0
		.amdhsa_exception_fp_denorm_src 0
		.amdhsa_exception_fp_ieee_div_zero 0
		.amdhsa_exception_fp_ieee_overflow 0
		.amdhsa_exception_fp_ieee_underflow 0
		.amdhsa_exception_fp_ieee_inexact 0
		.amdhsa_exception_int_div_zero 0
	.end_amdhsa_kernel
	.text
.Lfunc_end0:
	.size	fft_rtc_fwd_len1365_factors_13_7_5_3_wgs_182_tpt_91_halfLds_half_op_CI_CI_unitstride_sbrr_dirReg, .Lfunc_end0-fft_rtc_fwd_len1365_factors_13_7_5_3_wgs_182_tpt_91_halfLds_half_op_CI_CI_unitstride_sbrr_dirReg
                                        ; -- End function
	.section	.AMDGPU.csdata,"",@progbits
; Kernel info:
; codeLenInByte = 14040
; NumSgprs: 29
; NumVgprs: 101
; ScratchSize: 0
; MemoryBound: 0
; FloatMode: 240
; IeeeMode: 1
; LDSByteSize: 0 bytes/workgroup (compile time only)
; SGPRBlocks: 3
; VGPRBlocks: 12
; NumSGPRsForWavesPerEU: 29
; NumVGPRsForWavesPerEU: 101
; Occupancy: 9
; WaveLimiterHint : 1
; COMPUTE_PGM_RSRC2:SCRATCH_EN: 0
; COMPUTE_PGM_RSRC2:USER_SGPR: 6
; COMPUTE_PGM_RSRC2:TRAP_HANDLER: 0
; COMPUTE_PGM_RSRC2:TGID_X_EN: 1
; COMPUTE_PGM_RSRC2:TGID_Y_EN: 0
; COMPUTE_PGM_RSRC2:TGID_Z_EN: 0
; COMPUTE_PGM_RSRC2:TIDIG_COMP_CNT: 0
	.text
	.p2alignl 6, 3214868480
	.fill 48, 4, 3214868480
	.type	__hip_cuid_5c4bfbbfd5a27ec0,@object ; @__hip_cuid_5c4bfbbfd5a27ec0
	.section	.bss,"aw",@nobits
	.globl	__hip_cuid_5c4bfbbfd5a27ec0
__hip_cuid_5c4bfbbfd5a27ec0:
	.byte	0                               ; 0x0
	.size	__hip_cuid_5c4bfbbfd5a27ec0, 1

	.ident	"AMD clang version 19.0.0git (https://github.com/RadeonOpenCompute/llvm-project roc-6.4.0 25133 c7fe45cf4b819c5991fe208aaa96edf142730f1d)"
	.section	".note.GNU-stack","",@progbits
	.addrsig
	.addrsig_sym __hip_cuid_5c4bfbbfd5a27ec0
	.amdgpu_metadata
---
amdhsa.kernels:
  - .args:
      - .actual_access:  read_only
        .address_space:  global
        .offset:         0
        .size:           8
        .value_kind:     global_buffer
      - .offset:         8
        .size:           8
        .value_kind:     by_value
      - .actual_access:  read_only
        .address_space:  global
        .offset:         16
        .size:           8
        .value_kind:     global_buffer
      - .actual_access:  read_only
        .address_space:  global
        .offset:         24
        .size:           8
        .value_kind:     global_buffer
      - .actual_access:  read_only
        .address_space:  global
        .offset:         32
        .size:           8
        .value_kind:     global_buffer
      - .offset:         40
        .size:           8
        .value_kind:     by_value
      - .actual_access:  read_only
        .address_space:  global
        .offset:         48
        .size:           8
        .value_kind:     global_buffer
      - .actual_access:  read_only
        .address_space:  global
        .offset:         56
        .size:           8
        .value_kind:     global_buffer
      - .offset:         64
        .size:           4
        .value_kind:     by_value
      - .actual_access:  read_only
        .address_space:  global
        .offset:         72
        .size:           8
        .value_kind:     global_buffer
      - .actual_access:  read_only
        .address_space:  global
        .offset:         80
        .size:           8
        .value_kind:     global_buffer
      - .actual_access:  read_only
        .address_space:  global
        .offset:         88
        .size:           8
        .value_kind:     global_buffer
      - .actual_access:  write_only
        .address_space:  global
        .offset:         96
        .size:           8
        .value_kind:     global_buffer
    .group_segment_fixed_size: 0
    .kernarg_segment_align: 8
    .kernarg_segment_size: 104
    .language:       OpenCL C
    .language_version:
      - 2
      - 0
    .max_flat_workgroup_size: 182
    .name:           fft_rtc_fwd_len1365_factors_13_7_5_3_wgs_182_tpt_91_halfLds_half_op_CI_CI_unitstride_sbrr_dirReg
    .private_segment_fixed_size: 0
    .sgpr_count:     29
    .sgpr_spill_count: 0
    .symbol:         fft_rtc_fwd_len1365_factors_13_7_5_3_wgs_182_tpt_91_halfLds_half_op_CI_CI_unitstride_sbrr_dirReg.kd
    .uniform_work_group_size: 1
    .uses_dynamic_stack: false
    .vgpr_count:     101
    .vgpr_spill_count: 0
    .wavefront_size: 32
    .workgroup_processor_mode: 1
amdhsa.target:   amdgcn-amd-amdhsa--gfx1030
amdhsa.version:
  - 1
  - 2
...

	.end_amdgpu_metadata
